;; amdgpu-corpus repo=ROCm/aiter kind=harvested arch=n/a opt=n/a

/root/src/amdgpu-assembly/repos/ROCm__aiter/hsa/gfx942/fmoe/gelu/fmoe_bf16_pertokenFp8_g1u1_vs_tkw1_gelu_1tg_32x256.co:	file format elf64-amdgpu

Disassembly of section .text:

0000000000002e00 <_ZN5aiter50fmoe_bf16_pertokenFp8_g1u1_vs_tkw1_gelu_1tg_32x256E>:
	s_and_b32 s1, s1, 0xffff                                   // 000000002E00: 8601FF01 0000FFFF
	s_load_dwordx2 s[8:9], s[0:1], 0x0                         // 000000002E08: C0060200 00000000
	s_load_dwordx2 s[20:21], s[0:1], 0x10                      // 000000002E10: C0060500 00000010
	s_load_dwordx2 s[24:25], s[0:1], 0x20                      // 000000002E18: C0060600 00000020
	s_load_dwordx2 s[50:51], s[0:1], 0x30                      // 000000002E20: C0060C80 00000030
	s_load_dwordx2 s[12:13], s[0:1], 0x40                      // 000000002E28: C0060300 00000040
	s_load_dwordx2 s[28:29], s[0:1], 0x50                      // 000000002E30: C0060700 00000050
	s_load_dwordx2 s[32:33], s[0:1], 0x60                      // 000000002E38: C0060800 00000060
	s_load_dwordx2 s[16:17], s[0:1], 0x70                      // 000000002E40: C0060400 00000070
	s_load_dwordx2 s[36:37], s[0:1], 0x80                      // 000000002E48: C0060900 00000080
	s_load_dwordx2 s[44:45], s[0:1], 0x90                      // 000000002E50: C0060B00 00000090
	s_load_dwordx2 s[40:41], s[0:1], 0xa0                      // 000000002E58: C0060A00 000000A0
	s_load_dwordx2 s[46:47], s[0:1], 0xb0                      // 000000002E60: C0060B80 000000B0
	s_load_dword s64, s[0:1], 0xc0                             // 000000002E68: C0021000 000000C0
	s_load_dword s65, s[0:1], 0xd0                             // 000000002E70: C0021040 000000D0
	s_load_dword s66, s[0:1], 0xe0                             // 000000002E78: C0021080 000000E0
	s_load_dword s67, s[0:1], 0xf0                             // 000000002E80: C00210C0 000000F0
	s_load_dword s68, s[0:1], 0x100                            // 000000002E88: C0021100 00000100
	s_load_dword s69, s[0:1], 0x110                            // 000000002E90: C0021140 00000110
	s_load_dword s70, s[0:1], 0x120                            // 000000002E98: C0021180 00000120
	s_load_dword s71, s[0:1], 0x130                            // 000000002EA0: C00211C0 00000130
	s_load_dword s72, s[0:1], 0x140                            // 000000002EA8: C0021200 00000140
	s_load_dword s73, s[0:1], 0x150                            // 000000002EB0: C0021240 00000150
	s_load_dword s74, s[0:1], 0x160                            // 000000002EB8: C0021280 00000160
	s_load_dword s75, s[0:1], 0x170                            // 000000002EC0: C00212C0 00000170
	s_load_dword s76, s[0:1], 0x180                            // 000000002EC8: C0021300 00000180
	v_lshrrev_b32_e32 v1, 10, v0                               // 000000002ED0: 2002008A
	v_lshrrev_b32_e32 v2, 10, v1                               // 000000002ED4: 2004028A
	v_and_b32_e32 v2, 0x3ff, v2                                // 000000002ED8: 260404FF 000003FF
	v_and_b32_e32 v1, 0x3ff, v1                                // 000000002EE0: 260202FF 000003FF
	v_and_b32_e32 v0, 0x3ff, v0                                // 000000002EE8: 260000FF 000003FF
	v_lshrrev_b32_e32 v3, 6, v0                                // 000000002EF0: 20060086
	v_and_b32_e32 v0, 63, v0                                   // 000000002EF4: 260000BF
	s_mov_b32 s2, s2                                           // 000000002EF8: BE820002
	s_mov_b32 s3, s3                                           // 000000002EFC: BE830003
	s_mov_b32 s4, s4                                           // 000000002F00: BE840004
	v_readfirstlane_b32 s7, v3                                 // 000000002F04: 7E0E0503
	s_waitcnt lgkmcnt(0)                                       // 000000002F08: BF8CC07F
	s_and_b32 s51, s51, 0xffff                                 // 000000002F0C: 8633FF33 0000FFFF
	s_load_dword s50, s[50:51], 0x0                            // 000000002F14: C0020C99 00000000
	s_and_b32 s45, s45, 0xffff                                 // 000000002F1C: 862DFF2D 0000FFFF
	s_and_b32 s47, s47, 0xffff                                 // 000000002F24: 862FFF2F 0000FFFF
	s_and_b32 s9, s9, 0xffff                                   // 000000002F2C: 8609FF09 0000FFFF
	s_mul_i32 s60, s66, s68                                    // 000000002F34: 923C4442
	s_mul_i32 s61, s66, 4                                      // 000000002F38: 923D8442
	s_mov_b32 s22, s60                                         // 000000002F3C: BE96003C
	s_mov_b32 s26, 0x80000000                                  // 000000002F40: BE9A00FF 80000000
	s_mov_b32 s14, 0x80000000                                  // 000000002F48: BE8E00FF 80000000
	s_mov_b32 s42, 0x80000000                                  // 000000002F50: BEAA00FF 80000000
	s_mov_b32 s30, s61                                         // 000000002F58: BE9E003D
	s_mov_b32 s34, 0x400                                       // 000000002F5C: BEA200FF 00000400
	s_mov_b32 s38, 0x400                                       // 000000002F64: BEA600FF 00000400
	s_mov_b32 s18, 0x80000000                                  // 000000002F6C: BE9200FF 80000000
	s_mov_b32 s23, 0x20000                                     // 000000002F74: BE9700FF 00020000
	s_mov_b32 s27, 0x20000                                     // 000000002F7C: BE9B00FF 00020000
	s_mov_b32 s15, 0x20000                                     // 000000002F84: BE8F00FF 00020000
	s_mov_b32 s43, 0x20000                                     // 000000002F8C: BEAB00FF 00020000
	s_mov_b32 s31, 0x20000                                     // 000000002F94: BE9F00FF 00020000
	s_mov_b32 s35, 0x20000                                     // 000000002F9C: BEA300FF 00020000
	s_mov_b32 s39, 0x20000                                     // 000000002FA4: BEA700FF 00020000
	s_mov_b32 s19, 0x20000                                     // 000000002FAC: BE9300FF 00020000
	s_and_b32 s21, s21, 0xffff                                 // 000000002FB4: 8615FF15 0000FFFF
	s_and_b32 s25, s25, 0xffff                                 // 000000002FBC: 8619FF19 0000FFFF
	s_and_b32 s13, s13, 0xffff                                 // 000000002FC4: 860DFF0D 0000FFFF
	s_and_b32 s41, s41, 0xffff                                 // 000000002FCC: 8629FF29 0000FFFF
	s_and_b32 s29, s29, 0xffff                                 // 000000002FD4: 861DFF1D 0000FFFF
	s_and_b32 s33, s33, 0xffff                                 // 000000002FDC: 8621FF21 0000FFFF
	s_and_b32 s37, s37, 0xffff                                 // 000000002FE4: 8625FF25 0000FFFF
	s_and_b32 s17, s17, 0xffff                                 // 000000002FEC: 8611FF11 0000FFFF
	s_or_b32 s21, s21, 0x40000                                 // 000000002FF4: 8715FF15 00040000
	s_or_b32 s25, s25, 0x40000                                 // 000000002FFC: 8719FF19 00040000
	s_or_b32 s13, s13, 0x40000                                 // 000000003004: 870DFF0D 00040000
	s_or_b32 s41, s41, 0x40000                                 // 00000000300C: 8729FF29 00040000
	s_or_b32 s29, s29, 0x40000                                 // 000000003014: 871DFF1D 00040000
	s_or_b32 s33, s33, 0x40000                                 // 00000000301C: 8721FF21 00040000
	s_or_b32 s37, s37, 0x40000                                 // 000000003024: 8725FF25 00040000
	s_or_b32 s17, s17, 0x40000                                 // 00000000302C: 8711FF11 00040000
	v_accvgpr_write_b32 a127, 0                                // 000000003034: D3D9407F 18000080
	v_mov_b32_e32 v223, 0                                      // 00000000303C: 7FBE0280
	s_waitcnt lgkmcnt(0)                                       // 000000003040: BF8CC07F
	s_mul_i32 s60, s3, 32                                      // 000000003044: 923CA003
	s_cmp_lt_i32 s60, s50                                      // 000000003048: BF04323C
	s_cbranch_scc0 label_19EB                                  // 00000000304C: BF841957
	s_mov_b32 s80, 0                                           // 000000003050: BED00080
	s_mov_b32 s81, s64                                         // 000000003054: BED10040
	s_mul_i32 s60, s3, 4                                       // 000000003058: 923C8403
	s_add_u32 s46, s60, s46                                    // 00000000305C: 802E2E3C
	s_addc_u32 s47, 0, s47                                     // 000000003060: 822F2F80
	s_load_dword s5, s[46:47], 0x0                             // 000000003064: C0020157 00000000
	s_mul_i32 s60, s3, 32                                      // 00000000306C: 923CA003
	s_mul_i32 s60, 4, s60                                      // 000000003070: 923C3C84
	v_and_b32_e32 v46, 15, v0                                  // 000000003074: 265C008F
	v_lshlrev_b32_e32 v46, 2, v46                              // 000000003078: 245C5C82
	v_add_u32_e32 v46, s60, v46                                // 00000000307C: 685C5C3C
	v_mov_b32_e32 v47, 0                                       // 000000003080: 7E5E0280
	global_load_dword v6, v46, s[44:45]                        // 000000003084: DC508000 062C002E
	v_add_u32_e32 v46, 64, v46                                 // 00000000308C: 685C5CC0
	global_load_dword v7, v46, s[44:45]                        // 000000003090: DC508000 072C002E
	s_mul_i32 s60, s3, 32                                      // 000000003098: 923CA003
	s_add_u32 s60, s7, s60                                     // 00000000309C: 803C3C07
	s_mul_i32 s60, 4, s60                                      // 0000000030A0: 923C3C84
	s_add_u32 s44, s60, s44                                    // 0000000030A4: 802C2C3C
	s_addc_u32 s45, 0, s45                                     // 0000000030A8: 822D2D80
	s_load_dword s82, s[44:45], 0x0                            // 0000000030AC: C0021496 00000000
	s_load_dword s83, s[44:45], 0x10                           // 0000000030B4: C00214D6 00000010
	s_load_dword s84, s[44:45], 0x20                           // 0000000030BC: C0021516 00000020
	s_load_dword s85, s[44:45], 0x30                           // 0000000030C4: C0021556 00000030
	s_load_dword s86, s[44:45], 0x40                           // 0000000030CC: C0021596 00000040
	s_load_dword s87, s[44:45], 0x50                           // 0000000030D4: C00215D6 00000050
	s_load_dword s88, s[44:45], 0x60                           // 0000000030DC: C0021616 00000060
	s_load_dword s89, s[44:45], 0x70                           // 0000000030E4: C0021656 00000070
	s_waitcnt lgkmcnt(0)                                       // 0000000030EC: BF8CC07F
	v_lshlrev_b32_e32 v46, 2, v0                               // 0000000030F0: 245C0082
	s_and_b32 s82, s82, 0xffffff                               // 0000000030F4: 8652FF52 00FFFFFF
	s_mul_i32 s60, s82, s68                                    // 0000000030FC: 923C4452
	v_add_u32_e64 v24, v46, s60                                // 000000003100: D1340018 0000792E
	s_and_b32 s83, s83, 0xffffff                               // 000000003108: 8653FF53 00FFFFFF
	s_mul_i32 s60, s83, s68                                    // 000000003110: 923C4453
	v_add_u32_e64 v25, v46, s60                                // 000000003114: D1340019 0000792E
	s_and_b32 s84, s84, 0xffffff                               // 00000000311C: 8654FF54 00FFFFFF
	s_mul_i32 s60, s84, s68                                    // 000000003124: 923C4454
	v_add_u32_e64 v26, v46, s60                                // 000000003128: D134001A 0000792E
	s_and_b32 s85, s85, 0xffffff                               // 000000003130: 8655FF55 00FFFFFF
	s_mul_i32 s60, s85, s68                                    // 000000003138: 923C4455
	v_add_u32_e64 v27, v46, s60                                // 00000000313C: D134001B 0000792E
	s_and_b32 s86, s86, 0xffffff                               // 000000003144: 8656FF56 00FFFFFF
	s_mul_i32 s60, s86, s68                                    // 00000000314C: 923C4456
	v_add_u32_e64 v28, v46, s60                                // 000000003150: D134001C 0000792E
	s_and_b32 s87, s87, 0xffffff                               // 000000003158: 8657FF57 00FFFFFF
	s_mul_i32 s60, s87, s68                                    // 000000003160: 923C4457
	v_add_u32_e64 v29, v46, s60                                // 000000003164: D134001D 0000792E
	s_and_b32 s88, s88, 0xffffff                               // 00000000316C: 8658FF58 00FFFFFF
	s_mul_i32 s60, s88, s68                                    // 000000003174: 923C4458
	v_add_u32_e64 v30, v46, s60                                // 000000003178: D134001E 0000792E
	s_and_b32 s89, s89, 0xffffff                               // 000000003180: 8659FF59 00FFFFFF
	s_mul_i32 s60, s89, s68                                    // 000000003188: 923C4459
	v_add_u32_e64 v31, v46, s60                                // 00000000318C: D134001F 0000792E
	v_lshlrev_b32_e32 v46, 2, v0                               // 000000003194: 245C0082
	s_mul_i32 s60, s82, s71                                    // 000000003198: 923C4752
	v_add_u32_e64 v80, v46, s60                                // 00000000319C: D1340050 0000792E
	v_mov_b32_e32 v81, 0                                       // 0000000031A4: 7EA20280
	s_mul_i32 s60, s83, s71                                    // 0000000031A8: 923C4753
	v_add_u32_e64 v82, v46, s60                                // 0000000031AC: D1340052 0000792E
	v_mov_b32_e32 v83, 0                                       // 0000000031B4: 7EA60280
	s_mul_i32 s60, s84, s71                                    // 0000000031B8: 923C4754
	v_add_u32_e64 v84, v46, s60                                // 0000000031BC: D1340054 0000792E
	v_mov_b32_e32 v85, 0                                       // 0000000031C4: 7EAA0280
	s_mul_i32 s60, s85, s71                                    // 0000000031C8: 923C4755
	v_add_u32_e64 v86, v46, s60                                // 0000000031CC: D1340056 0000792E
	v_mov_b32_e32 v87, 0                                       // 0000000031D4: 7EAE0280
	s_mul_i32 s60, s86, s71                                    // 0000000031D8: 923C4756
	v_add_u32_e64 v88, v46, s60                                // 0000000031DC: D1340058 0000792E
	v_mov_b32_e32 v89, 0                                       // 0000000031E4: 7EB20280
	s_mul_i32 s60, s87, s71                                    // 0000000031E8: 923C4757
	v_add_u32_e64 v90, v46, s60                                // 0000000031EC: D134005A 0000792E
	v_mov_b32_e32 v91, 0                                       // 0000000031F4: 7EB60280
	s_mul_i32 s60, s88, s71                                    // 0000000031F8: 923C4758
	v_add_u32_e64 v92, v46, s60                                // 0000000031FC: D134005C 0000792E
	v_mov_b32_e32 v93, 0                                       // 000000003204: 7EBA0280
	s_mul_i32 s60, s89, s71                                    // 000000003208: 923C4759
	v_add_u32_e64 v94, v46, s60                                // 00000000320C: D134005E 0000792E
	v_mov_b32_e32 v95, 0                                       // 000000003214: 7EBE0280
	s_mul_i32 s60, s7, 0x820                                   // 000000003218: 923CFF07 00000820
	s_add_u32 s50, 0, s60                                      // 000000003220: 80323C80
	s_add_u32 s51, 0x2080, s50                                 // 000000003224: 803332FF 00002080
	v_lshrrev_b32_e32 v46, 4, v0                               // 00000000322C: 205C0084
	v_lshlrev_b32_e32 v47, 2, v46                              // 000000003230: 245E5C82
	v_and_b32_e32 v46, 15, v0                                  // 000000003234: 265C008F
	v_lshrrev_b32_e32 v48, 2, v46                              // 000000003238: 20605C82
	v_lshlrev_b32_e32 v48, 6, v48                              // 00000000323C: 24606086
	v_add_u32_e32 v47, v48, v47                                // 000000003240: 685E5F30
	v_and_b32_e32 v46, 3, v0                                   // 000000003244: 265C0083
	v_mul_i32_i24_e32 v48, 0x208, v46                          // 000000003248: 0C605CFF 00000208
	v_add_u32_e32 v47, v48, v47                                // 000000003250: 685E5F30
	v_lshlrev_b32_e32 v2, 2, v47                               // 000000003254: 24045E82
	s_mul_i32 s60, s2, 0x100                                   // 000000003258: 923CFF02 00000100
	s_mul_i32 s60, s60, s69                                    // 000000003260: 923C453C
	s_mul_i32 s61, s5, s72                                     // 000000003264: 923D4805
	s_add_u32 s60, s61, s60                                    // 000000003268: 803C3C3D
	s_add_u32 s24, s60, s24                                    // 00000000326C: 8018183C
	s_addc_u32 s25, 0, s25                                     // 000000003270: 82191980
	s_mul_i32 s60, s7, 16                                      // 000000003274: 923C9007
	s_mul_i32 s60, s60, s69                                    // 000000003278: 923C453C
	v_lshlrev_b32_e32 v32, 4, v0                               // 00000000327C: 24400084
	v_add_u32_e32 v32, s60, v32                                // 000000003280: 6840403C
	s_mul_i32 s60, 64, s69                                     // 000000003284: 923C45C0
	v_add_u32_e32 v33, s60, v32                                // 000000003288: 6842403C
	v_add_u32_e32 v34, s60, v33                                // 00000000328C: 6844423C
	v_add_u32_e32 v35, s60, v34                                // 000000003290: 6846443C
	s_mov_b32 s92, s24                                         // 000000003294: BEDC0018
	s_mov_b32 s93, s25                                         // 000000003298: BEDD0019
	s_mov_b32 s94, s26                                         // 00000000329C: BEDE001A
	s_mov_b32 s95, s27                                         // 0000000032A0: BEDF001B
	s_mul_i32 s60, s69, s65                                    // 0000000032A4: 923C4145
	s_add_u32 s92, s60, s92                                    // 0000000032A8: 805C5C3C
	s_addc_u32 s93, 0, s93                                     // 0000000032AC: 825D5D80
	s_mul_i32 s60, s2, 0x1000                                  // 0000000032B0: 923CFF02 00001000
	s_mul_i32 s61, s5, s73                                     // 0000000032B8: 923D4905
	s_add_u32 s60, s61, s60                                    // 0000000032BC: 803C3C3D
	s_add_u32 s12, s60, s12                                    // 0000000032C0: 800C0C3C
	s_addc_u32 s13, 0, s13                                     // 0000000032C4: 820D0D80
	s_mul_i32 s60, s7, 16                                      // 0000000032C8: 923C9007
	s_mul_i32 s60, s60, s70                                    // 0000000032CC: 923C463C
	v_lshlrev_b32_e32 v36, 4, v0                               // 0000000032D0: 24480084
	v_add_u32_e32 v36, s60, v36                                // 0000000032D4: 6848483C
	s_mul_i32 s60, 64, s70                                     // 0000000032D8: 923C46C0
	v_add_u32_e32 v37, s60, v36                                // 0000000032DC: 684A483C
	v_add_u32_e32 v38, s60, v37                                // 0000000032E0: 684C4A3C
	v_add_u32_e32 v39, s60, v38                                // 0000000032E4: 684E4C3C
	s_mul_i32 s60, s70, 0x100                                  // 0000000032E8: 923CFF46 00000100
	s_mov_b32 s78, 0x400                                       // 0000000032F0: BECE00FF 00000400
	s_mul_i32 s61, s78, 3                                      // 0000000032F8: 923D834E
	s_sub_u32 s56, s60, s61                                    // 0000000032FC: 80B83D3C
	s_mul_i32 s60, s3, 32                                      // 000000003300: 923CA003
	s_mul_i32 s60, 4, s60                                      // 000000003304: 923C3C84
	s_add_u32 s40, s60, s40                                    // 000000003308: 8028283C
	s_addc_u32 s41, 0, s41                                     // 00000000330C: 82292980
	v_and_b32_e32 v46, 15, v0                                  // 000000003310: 265C008F
	v_lshlrev_b32_e32 v8, 2, v46                               // 000000003314: 24105C82
	v_add_u32_e32 v9, 64, v8                                   // 000000003318: 681210C0
	v_lshrrev_b32_e32 v46, 4, v0                               // 00000000331C: 205C0084
	v_lshlrev_b32_e32 v47, 2, v46                              // 000000003320: 245E5C82
	v_and_b32_e32 v46, 15, v0                                  // 000000003324: 265C008F
	v_lshrrev_b32_e32 v48, 2, v46                              // 000000003328: 20605C82
	v_lshlrev_b32_e32 v48, 6, v48                              // 00000000332C: 24606086
	v_add_u32_e32 v47, v48, v47                                // 000000003330: 685E5F30
	v_and_b32_e32 v46, 3, v0                                   // 000000003334: 265C0083
	v_add_u32_e32 v47, v46, v47                                // 000000003338: 685E5F2E
	v_lshlrev_b32_e32 v10, 2, v47                              // 00000000333C: 24145E82
	v_add_u32_e32 v11, 0x400, v10                              // 000000003340: 681614FF 00000400
	s_mul_i32 s60, s7, 16                                      // 000000003348: 923C9007
	s_mul_i32 s60, s60, 4                                      // 00000000334C: 923C843C
	v_add_u32_e32 v10, s60, v10                                // 000000003350: 6814143C
	v_add_u32_e32 v11, s60, v11                                // 000000003354: 6816163C
	v_mov_b32_e32 v5, v10                                      // 000000003358: 7E0A030A
	s_mul_i32 s60, s2, 0x100                                   // 00000000335C: 923CFF02 00000100
	s_mul_i32 s60, s60, 4                                      // 000000003364: 923C843C
	s_mul_i32 s61, s5, s74                                     // 000000003368: 923D4A05
	s_add_u32 s61, s61, s60                                    // 00000000336C: 803D3C3D
	s_mul_i32 s62, s5, s76                                     // 000000003370: 923E4C05
	s_add_u32 s62, s62, s60                                    // 000000003374: 803E3C3E
	s_add_u32 s32, s61, s32                                    // 000000003378: 8020203D
	s_addc_u32 s33, 0, s33                                     // 00000000337C: 82212180
	s_add_u32 s36, s62, s36                                    // 000000003380: 8024243E
	s_addc_u32 s37, 0, s37                                     // 000000003384: 82252580
	s_mul_i32 s60, s5, s75                                     // 000000003388: 923C4B05
	s_add_u32 s16, s60, s16                                    // 00000000338C: 8010103C
	s_addc_u32 s17, 0, s17                                     // 000000003390: 82111180
	s_mov_b32 s57, 0x100                                       // 000000003394: BEB900FF 00000100
	s_mov_b32 s58, 0x1000                                      // 00000000339C: BEBA00FF 00001000
	s_mov_b32 s79, 0x400                                       // 0000000033A4: BECF00FF 00000400
	s_mov_b32 s59, 0x200                                       // 0000000033AC: BEBB00FF 00000200
	s_mov_b32 s90, s58                                         // 0000000033B4: BEDA003A
	s_mov_b32 s52, 0x7060302                                   // 0000000033B8: BEB400FF 07060302
	s_mov_b32 s53, 0x400                                       // 0000000033C0: BEB500FF 00000400
	s_mov_b32 s54, 0x40100                                     // 0000000033C8: BEB600FF 00040100
	s_mov_b32 s55, 0x4020100                                   // 0000000033D0: BEB700FF 04020100
	s_mov_b32 s6, 0x3fb8aa3b                                   // 0000000033D8: BE8600FF 3FB8AA3B
	s_mov_b32 s77, 0xbd92220c                                  // 0000000033E0: BECD00FF BD92220C
	s_mov_b32 m0, s50                                          // 0000000033E8: BEFC0032
	v_mov_b32_e32 v1, 0xbfcc4231                               // 0000000033EC: 7E0202FF BFCC4231
	v_mov_b32_e32 v41, 0xffff0000                              // 0000000033F4: 7E5202FF FFFF0000
	v_mov_b32_e32 v42, 0x7fff0000                              // 0000000033FC: 7E5402FF 7FFF0000
	v_mov_b32_e32 v43, 0x7fff                                  // 000000003404: 7E5602FF 00007FFF
	s_waitcnt vmcnt(0) expcnt(0) lgkmcnt(0)                    // 00000000340C: BF8C0000
	v_and_b32_e32 v6, 0xffffff, v6                             // 000000003410: 260C0CFF 00FFFFFF
	v_and_b32_e32 v7, 0xffffff, v7                             // 000000003418: 260E0EFF 00FFFFFF
	v_lshlrev_b32_e32 v6, 2, v6                                // 000000003420: 240C0C82
	v_lshlrev_b32_e32 v7, 2, v7                                // 000000003424: 240E0E82
	buffer_load_dword v13, v6, s[28:31], 0 offen               // 000000003428: E0501000 80070D06
	buffer_load_dword v14, v7, s[28:31], 0 offen               // 000000003430: E0501000 80070E07
	buffer_load_dword v15, v10, s[32:35], 0 offen              // 000000003438: E0501000 80080F0A
	buffer_load_dword v16, v11, s[32:35], 0 offen              // 000000003440: E0501000 8008100B
	s_mul_i32 s60, 4, s65                                      // 000000003448: 923C4184
	s_add_u32 s32, s60, s32                                    // 00000000344C: 8020203C
	s_addc_u32 s33, 0, s33                                     // 000000003450: 82212180
	buffer_load_dword v44, v10, s[32:35], 0 offen              // 000000003454: E0501000 80082C0A
	buffer_load_dword v45, v11, s[32:35], 0 offen              // 00000000345C: E0501000 80082D0B
	buffer_load_dword v17, v8, s[40:43], 0 offen               // 000000003464: E0501000 800A1108
	buffer_load_dword v18, v9, s[40:43], 0 offen               // 00000000346C: E0501000 800A1209
	buffer_load_dword v24, s[20:23], 0 offen lds               // 000000003474: E0511000 80050018
	s_add_u32 m0, 0x100, s50                                   // 00000000347C: 807C32FF 00000100
	buffer_load_dword v25, s[20:23], 0 offen lds               // 000000003484: E0511000 80050019
	s_add_u32 m0, 0x200, s50                                   // 00000000348C: 807C32FF 00000200
	buffer_load_dword v26, s[20:23], 0 offen lds               // 000000003494: E0511000 8005001A
	s_add_u32 m0, 0x300, s50                                   // 00000000349C: 807C32FF 00000300
	buffer_load_dword v27, s[20:23], 0 offen lds               // 0000000034A4: E0511000 8005001B
	s_add_u32 m0, 0x400, s50                                   // 0000000034AC: 807C32FF 00000400
	buffer_load_dword v28, s[20:23], 0 offen lds               // 0000000034B4: E0511000 8005001C
	s_add_u32 m0, 0x500, s50                                   // 0000000034BC: 807C32FF 00000500
	buffer_load_dword v29, s[20:23], 0 offen lds               // 0000000034C4: E0511000 8005001D
	s_add_u32 m0, 0x600, s50                                   // 0000000034CC: 807C32FF 00000600
	buffer_load_dword v30, s[20:23], 0 offen lds               // 0000000034D4: E0511000 8005001E
	s_add_u32 m0, 0x700, s50                                   // 0000000034DC: 807C32FF 00000700
	buffer_load_dword v31, s[20:23], 0 offen lds               // 0000000034E4: E0511000 8005001F
	s_add_u32 m0, 0, s51                                       // 0000000034EC: 807C3380
	s_add_u32 s20, s57, s20                                    // 0000000034F0: 80141439
	s_addc_u32 s21, 0, s21                                     // 0000000034F4: 82151580
	buffer_load_dwordx4 a[0:3], v32, s[24:27], 0 offen         // 0000000034F8: E05C1000 80860020
	buffer_load_dwordx4 a[4:7], v32, s[24:27], 0 offen offset:1024// 000000003500: E05C1400 80860420
	buffer_load_dwordx4 a[8:11], v32, s[24:27], 0 offen offset:2048// 000000003508: E05C1800 80860820
	buffer_load_dwordx4 a[12:15], v32, s[24:27], 0 offen offset:3072// 000000003510: E05C1C00 80860C20
	buffer_load_dwordx4 a[16:19], v33, s[24:27], 0 offen       // 000000003518: E05C1000 80861021
	buffer_load_dwordx4 a[20:23], v33, s[24:27], 0 offen offset:1024// 000000003520: E05C1400 80861421
	buffer_load_dwordx4 a[24:27], v33, s[24:27], 0 offen offset:2048// 000000003528: E05C1800 80861821
	buffer_load_dwordx4 a[28:31], v33, s[24:27], 0 offen offset:3072// 000000003530: E05C1C00 80861C21
	buffer_load_dwordx4 a[32:35], v34, s[24:27], 0 offen       // 000000003538: E05C1000 80862022
	buffer_load_dwordx4 a[36:39], v34, s[24:27], 0 offen offset:1024// 000000003540: E05C1400 80862422
	buffer_load_dwordx4 a[40:43], v34, s[24:27], 0 offen offset:2048// 000000003548: E05C1800 80862822
	buffer_load_dwordx4 a[44:47], v34, s[24:27], 0 offen offset:3072// 000000003550: E05C1C00 80862C22
	buffer_load_dwordx4 a[48:51], v35, s[24:27], 0 offen       // 000000003558: E05C1000 80863023
	buffer_load_dwordx4 a[52:55], v35, s[24:27], 0 offen offset:1024// 000000003560: E05C1400 80863423
	buffer_load_dwordx4 a[56:59], v35, s[24:27], 0 offen offset:2048// 000000003568: E05C1800 80863823
	buffer_load_dwordx4 a[60:63], v35, s[24:27], 0 offen offset:3072// 000000003570: E05C1C00 80863C23
	s_add_u32 s24, s58, s24                                    // 000000003578: 8018183A
	s_addc_u32 s25, 0, s25                                     // 00000000357C: 82191980
	v_mov_b32_e32 v128, 0                                      // 000000003580: 7F000280
	v_mov_b32_e32 v64, 0                                       // 000000003584: 7E800280
	v_mov_b32_e32 v129, 0                                      // 000000003588: 7F020280
	v_mov_b32_e32 v65, 0                                       // 00000000358C: 7E820280
	v_mov_b32_e32 v130, 0                                      // 000000003590: 7F040280
	v_mov_b32_e32 v66, 0                                       // 000000003594: 7E840280
	v_mov_b32_e32 v131, 0                                      // 000000003598: 7F060280
	v_mov_b32_e32 v67, 0                                       // 00000000359C: 7E860280
	v_mov_b32_e32 v132, 0                                      // 0000000035A0: 7F080280
	v_mov_b32_e32 v68, 0                                       // 0000000035A4: 7E880280
	v_mov_b32_e32 v133, 0                                      // 0000000035A8: 7F0A0280
	v_mov_b32_e32 v69, 0                                       // 0000000035AC: 7E8A0280
	v_mov_b32_e32 v134, 0                                      // 0000000035B0: 7F0C0280
	v_mov_b32_e32 v70, 0                                       // 0000000035B4: 7E8C0280
	v_mov_b32_e32 v135, 0                                      // 0000000035B8: 7F0E0280
	v_mov_b32_e32 v71, 0                                       // 0000000035BC: 7E8E0280
	v_mov_b32_e32 v136, 0                                      // 0000000035C0: 7F100280
	v_mov_b32_e32 v72, 0                                       // 0000000035C4: 7E900280
	v_mov_b32_e32 v137, 0                                      // 0000000035C8: 7F120280
	v_mov_b32_e32 v73, 0                                       // 0000000035CC: 7E920280
	v_mov_b32_e32 v138, 0                                      // 0000000035D0: 7F140280
	v_mov_b32_e32 v74, 0                                       // 0000000035D4: 7E940280
	v_mov_b32_e32 v139, 0                                      // 0000000035D8: 7F160280
	v_mov_b32_e32 v75, 0                                       // 0000000035DC: 7E960280
	v_mov_b32_e32 v140, 0                                      // 0000000035E0: 7F180280
	v_mov_b32_e32 v76, 0                                       // 0000000035E4: 7E980280
	v_mov_b32_e32 v141, 0                                      // 0000000035E8: 7F1A0280
	v_mov_b32_e32 v77, 0                                       // 0000000035EC: 7E9A0280
	v_mov_b32_e32 v142, 0                                      // 0000000035F0: 7F1C0280
	v_mov_b32_e32 v78, 0                                       // 0000000035F4: 7E9C0280
	v_mov_b32_e32 v143, 0                                      // 0000000035F8: 7F1E0280
	v_mov_b32_e32 v79, 0                                       // 0000000035FC: 7E9E0280
	v_mov_b32_e32 v144, 0                                      // 000000003600: 7F200280
	v_mov_b32_e32 v80, 0                                       // 000000003604: 7EA00280
	v_mov_b32_e32 v145, 0                                      // 000000003608: 7F220280
	v_mov_b32_e32 v81, 0                                       // 00000000360C: 7EA20280
	v_mov_b32_e32 v146, 0                                      // 000000003610: 7F240280
	v_mov_b32_e32 v82, 0                                       // 000000003614: 7EA40280
	v_mov_b32_e32 v147, 0                                      // 000000003618: 7F260280
	v_mov_b32_e32 v83, 0                                       // 00000000361C: 7EA60280
	v_mov_b32_e32 v148, 0                                      // 000000003620: 7F280280
	v_mov_b32_e32 v84, 0                                       // 000000003624: 7EA80280
	v_mov_b32_e32 v149, 0                                      // 000000003628: 7F2A0280
	v_mov_b32_e32 v85, 0                                       // 00000000362C: 7EAA0280
	v_mov_b32_e32 v150, 0                                      // 000000003630: 7F2C0280
	v_mov_b32_e32 v86, 0                                       // 000000003634: 7EAC0280
	v_mov_b32_e32 v151, 0                                      // 000000003638: 7F2E0280
	v_mov_b32_e32 v87, 0                                       // 00000000363C: 7EAE0280
	v_mov_b32_e32 v152, 0                                      // 000000003640: 7F300280
	v_mov_b32_e32 v88, 0                                       // 000000003644: 7EB00280
	v_mov_b32_e32 v153, 0                                      // 000000003648: 7F320280
	v_mov_b32_e32 v89, 0                                       // 00000000364C: 7EB20280
	v_mov_b32_e32 v154, 0                                      // 000000003650: 7F340280
	v_mov_b32_e32 v90, 0                                       // 000000003654: 7EB40280
	v_mov_b32_e32 v155, 0                                      // 000000003658: 7F360280
	v_mov_b32_e32 v91, 0                                       // 00000000365C: 7EB60280
	v_mov_b32_e32 v156, 0                                      // 000000003660: 7F380280
	v_mov_b32_e32 v92, 0                                       // 000000003664: 7EB80280
	v_mov_b32_e32 v157, 0                                      // 000000003668: 7F3A0280
	v_mov_b32_e32 v93, 0                                       // 00000000366C: 7EBA0280
	v_mov_b32_e32 v158, 0                                      // 000000003670: 7F3C0280
	v_mov_b32_e32 v94, 0                                       // 000000003674: 7EBC0280
	v_mov_b32_e32 v159, 0                                      // 000000003678: 7F3E0280
	v_mov_b32_e32 v95, 0                                       // 00000000367C: 7EBE0280
	v_lshrrev_b32_e32 v46, 4, v0                               // 000000003680: 205C0084
	v_mul_i32_i24_e32 v3, 34, v46                              // 000000003684: 0C065CA2
	v_and_b32_e32 v46, 15, v0                                  // 000000003688: 265C008F
	v_mul_i32_i24_e32 v47, 2, v46                              // 00000000368C: 0C5E5C82
	v_add_u32_e32 v3, v47, v3                                  // 000000003690: 6806072F
	s_mul_i32 s60, s7, 0x88                                    // 000000003694: 923CFF07 00000088
	v_add_u32_e32 v3, s60, v3                                  // 00000000369C: 6806063C
	v_lshlrev_b32_e32 v3, 2, v3                                // 0000000036A0: 24060682
	v_lshrrev_b32_e32 v46, 1, v0                               // 0000000036A4: 205C0081
	v_mul_i32_i24_e32 v4, 34, v46                              // 0000000036A8: 0C085CA2
	v_and_b32_e32 v47, 1, v0                                   // 0000000036AC: 265E0081
	v_add_u32_e32 v4, v47, v4                                  // 0000000036B0: 6808092F
	s_mul_i32 s60, s7, 2                                       // 0000000036B4: 923C8207
	v_add_u32_e32 v4, s60, v4                                  // 0000000036B8: 6808083C
	v_lshlrev_b32_e32 v4, 2, v4                                // 0000000036BC: 24080882
	s_waitcnt vmcnt(16)                                        // 0000000036C0: BF8C4F70
	s_barrier                                                  // 0000000036C4: BF8A0000
	ds_read_b128 v[160:163], v2                                // 0000000036C8: D9FE0000 A0000002
	ds_read_b128 v[164:167], v2 offset:64                      // 0000000036D0: D9FE0040 A4000002
	ds_read_b128 v[168:171], v2 offset:128                     // 0000000036D8: D9FE0080 A8000002
	ds_read_b128 v[172:175], v2 offset:192                     // 0000000036E0: D9FE00C0 AC000002
	ds_read_b128 v[176:179], v2 offset:1024                    // 0000000036E8: D9FE0400 B0000002
	ds_read_b128 v[180:183], v2 offset:1088                    // 0000000036F0: D9FE0440 B4000002
	ds_read_b128 v[184:187], v2 offset:1152                    // 0000000036F8: D9FE0480 B8000002
	ds_read_b128 v[188:191], v2 offset:1216                    // 000000003700: D9FE04C0 BC000002
	s_cmp_lt_i32 s7, 2                                         // 000000003708: BF048207
	s_cbranch_scc0 label_0E19                                  // 00000000370C: BF840BD5

0000000000003710 <label_0244>:
	s_waitcnt vmcnt(8) lgkmcnt(0)                              // 000000003710: BF8C0078
	s_barrier                                                  // 000000003714: BF8A0000
	v_mfma_f32_16x16x32_fp8_fp8 v[128:131], a[0:1], v[160:161], v[128:131]// 000000003718: D3F30080 0E034100
	v_mfma_f32_16x16x32_fp8_fp8 v[128:131], a[2:3], v[162:163], v[128:131]// 000000003720: D3F30080 0E034502
	buffer_load_dwordx4 a[64:67], v32, s[92:95], 0 offen       // 000000003728: E05C1000 80974020
	v_mfma_f32_16x16x32_fp8_fp8 v[128:131], a[4:5], v[164:165], v[128:131]// 000000003730: D3F30080 0E034904
	v_mfma_f32_16x16x32_fp8_fp8 v[128:131], a[6:7], v[166:167], v[128:131]// 000000003738: D3F30080 0E034D06
	buffer_load_dword v24, s[20:23], 0 offen lds               // 000000003740: E0511000 80050018
	s_add_u32 m0, 0x100, s51                                   // 000000003748: 807C33FF 00000100
	v_mfma_f32_16x16x32_fp8_fp8 v[128:131], a[8:9], v[168:169], v[128:131]// 000000003750: D3F30080 0E035108
	v_mfma_f32_16x16x32_fp8_fp8 v[128:131], a[10:11], v[170:171], v[128:131]// 000000003758: D3F30080 0E03550A
	buffer_load_dwordx4 a[68:71], v32, s[92:95], 0 offen offset:1024// 000000003760: E05C1400 80974420
	v_mfma_f32_16x16x32_fp8_fp8 v[128:131], a[12:13], v[172:173], v[128:131]// 000000003768: D3F30080 0E03590C
	v_mfma_f32_16x16x32_fp8_fp8 v[128:131], a[14:15], v[174:175], v[128:131]// 000000003770: D3F30080 0E035D0E
	buffer_load_dword v25, s[20:23], 0 offen lds               // 000000003778: E0511000 80050019
	s_add_u32 m0, 0x200, s51                                   // 000000003780: 807C33FF 00000200
	v_mfma_f32_16x16x32_fp8_fp8 v[132:135], a[0:1], v[176:177], v[132:135]// 000000003788: D3F30084 0E136100
	v_mfma_f32_16x16x32_fp8_fp8 v[132:135], a[2:3], v[178:179], v[132:135]// 000000003790: D3F30084 0E136502
	buffer_load_dwordx4 a[72:75], v32, s[92:95], 0 offen offset:2048// 000000003798: E05C1800 80974820
	v_mfma_f32_16x16x32_fp8_fp8 v[132:135], a[4:5], v[180:181], v[132:135]// 0000000037A0: D3F30084 0E136904
	v_mfma_f32_16x16x32_fp8_fp8 v[132:135], a[6:7], v[182:183], v[132:135]// 0000000037A8: D3F30084 0E136D06
	buffer_load_dword v26, s[20:23], 0 offen lds               // 0000000037B0: E0511000 8005001A
	s_add_u32 m0, 0x300, s51                                   // 0000000037B8: 807C33FF 00000300
	v_mfma_f32_16x16x32_fp8_fp8 v[132:135], a[8:9], v[184:185], v[132:135]// 0000000037C0: D3F30084 0E137108
	v_mfma_f32_16x16x32_fp8_fp8 v[132:135], a[10:11], v[186:187], v[132:135]// 0000000037C8: D3F30084 0E13750A
	buffer_load_dwordx4 a[76:79], v32, s[92:95], 0 offen offset:3072// 0000000037D0: E05C1C00 80974C20
	v_mfma_f32_16x16x32_fp8_fp8 v[132:135], a[12:13], v[188:189], v[132:135]// 0000000037D8: D3F30084 0E13790C
	v_mfma_f32_16x16x32_fp8_fp8 v[132:135], a[14:15], v[190:191], v[132:135]// 0000000037E0: D3F30084 0E137D0E
	buffer_load_dword v27, s[20:23], 0 offen lds               // 0000000037E8: E0511000 8005001B
	s_add_u32 m0, 0x400, s51                                   // 0000000037F0: 807C33FF 00000400
	v_mfma_f32_16x16x32_fp8_fp8 v[136:139], a[16:17], v[160:161], v[136:139]// 0000000037F8: D3F30088 0E234110
	v_mfma_f32_16x16x32_fp8_fp8 v[136:139], a[18:19], v[162:163], v[136:139]// 000000003800: D3F30088 0E234512
	buffer_load_dwordx4 a[80:83], v33, s[92:95], 0 offen       // 000000003808: E05C1000 80975021
	v_mfma_f32_16x16x32_fp8_fp8 v[136:139], a[20:21], v[164:165], v[136:139]// 000000003810: D3F30088 0E234914
	v_mfma_f32_16x16x32_fp8_fp8 v[136:139], a[22:23], v[166:167], v[136:139]// 000000003818: D3F30088 0E234D16
	buffer_load_dword v28, s[20:23], 0 offen lds               // 000000003820: E0511000 8005001C
	s_add_u32 m0, 0x500, s51                                   // 000000003828: 807C33FF 00000500
	v_mfma_f32_16x16x32_fp8_fp8 v[136:139], a[24:25], v[168:169], v[136:139]// 000000003830: D3F30088 0E235118
	v_mfma_f32_16x16x32_fp8_fp8 v[136:139], a[26:27], v[170:171], v[136:139]// 000000003838: D3F30088 0E23551A
	buffer_load_dwordx4 a[84:87], v33, s[92:95], 0 offen offset:1024// 000000003840: E05C1400 80975421
	v_mfma_f32_16x16x32_fp8_fp8 v[136:139], a[28:29], v[172:173], v[136:139]// 000000003848: D3F30088 0E23591C
	v_mfma_f32_16x16x32_fp8_fp8 v[136:139], a[30:31], v[174:175], v[136:139]// 000000003850: D3F30088 0E235D1E
	buffer_load_dword v29, s[20:23], 0 offen lds               // 000000003858: E0511000 8005001D
	s_add_u32 m0, 0x600, s51                                   // 000000003860: 807C33FF 00000600
	v_mfma_f32_16x16x32_fp8_fp8 v[140:143], a[16:17], v[176:177], v[140:143]// 000000003868: D3F3008C 0E336110
	v_mfma_f32_16x16x32_fp8_fp8 v[140:143], a[18:19], v[178:179], v[140:143]// 000000003870: D3F3008C 0E336512
	buffer_load_dwordx4 a[88:91], v33, s[92:95], 0 offen offset:2048// 000000003878: E05C1800 80975821
	v_mfma_f32_16x16x32_fp8_fp8 v[140:143], a[20:21], v[180:181], v[140:143]// 000000003880: D3F3008C 0E336914
	v_mfma_f32_16x16x32_fp8_fp8 v[140:143], a[22:23], v[182:183], v[140:143]// 000000003888: D3F3008C 0E336D16
	buffer_load_dword v30, s[20:23], 0 offen lds               // 000000003890: E0511000 8005001E
	s_add_u32 m0, 0x700, s51                                   // 000000003898: 807C33FF 00000700
	v_mfma_f32_16x16x32_fp8_fp8 v[140:143], a[24:25], v[184:185], v[140:143]// 0000000038A0: D3F3008C 0E337118
	v_mfma_f32_16x16x32_fp8_fp8 v[140:143], a[26:27], v[186:187], v[140:143]// 0000000038A8: D3F3008C 0E33751A
	buffer_load_dwordx4 a[92:95], v33, s[92:95], 0 offen offset:3072// 0000000038B0: E05C1C00 80975C21
	v_mfma_f32_16x16x32_fp8_fp8 v[140:143], a[28:29], v[188:189], v[140:143]// 0000000038B8: D3F3008C 0E33791C
	v_mfma_f32_16x16x32_fp8_fp8 v[140:143], a[30:31], v[190:191], v[140:143]// 0000000038C0: D3F3008C 0E337D1E
	buffer_load_dword v31, s[20:23], 0 offen lds               // 0000000038C8: E0511000 8005001F
	s_add_u32 m0, 0, s50                                       // 0000000038D0: 807C3280
	s_waitcnt vmcnt(20)                                        // 0000000038D4: BF8C4F74
	v_mfma_f32_16x16x32_fp8_fp8 v[144:147], a[32:33], v[160:161], v[144:147]// 0000000038D8: D3F30090 0E434120
	v_mfma_f32_16x16x32_fp8_fp8 v[144:147], a[34:35], v[162:163], v[144:147]// 0000000038E0: D3F30090 0E434522
	buffer_load_dwordx4 a[96:99], v34, s[92:95], 0 offen       // 0000000038E8: E05C1000 80976022
	v_mfma_f32_16x16x32_fp8_fp8 v[144:147], a[36:37], v[164:165], v[144:147]// 0000000038F0: D3F30090 0E434924
	v_mfma_f32_16x16x32_fp8_fp8 v[144:147], a[38:39], v[166:167], v[144:147]// 0000000038F8: D3F30090 0E434D26
	v_mfma_f32_16x16x32_fp8_fp8 v[144:147], a[40:41], v[168:169], v[144:147]// 000000003900: D3F30090 0E435128
	v_mfma_f32_16x16x32_fp8_fp8 v[144:147], a[42:43], v[170:171], v[144:147]// 000000003908: D3F30090 0E43552A
	buffer_load_dwordx4 a[100:103], v34, s[92:95], 0 offen offset:1024// 000000003910: E05C1400 80976422
	v_mfma_f32_16x16x32_fp8_fp8 v[144:147], a[44:45], v[172:173], v[144:147]// 000000003918: D3F30090 0E43592C
	v_mfma_f32_16x16x32_fp8_fp8 v[144:147], a[46:47], v[174:175], v[144:147]// 000000003920: D3F30090 0E435D2E
	v_mfma_f32_16x16x32_fp8_fp8 v[148:151], a[32:33], v[176:177], v[148:151]// 000000003928: D3F30094 0E536120
	v_mfma_f32_16x16x32_fp8_fp8 v[148:151], a[34:35], v[178:179], v[148:151]// 000000003930: D3F30094 0E536522
	buffer_load_dwordx4 a[104:107], v34, s[92:95], 0 offen offset:2048// 000000003938: E05C1800 80976822
	v_mfma_f32_16x16x32_fp8_fp8 v[148:151], a[36:37], v[180:181], v[148:151]// 000000003940: D3F30094 0E536924
	v_mfma_f32_16x16x32_fp8_fp8 v[148:151], a[38:39], v[182:183], v[148:151]// 000000003948: D3F30094 0E536D26
	v_mfma_f32_16x16x32_fp8_fp8 v[148:151], a[40:41], v[184:185], v[148:151]// 000000003950: D3F30094 0E537128
	v_mfma_f32_16x16x32_fp8_fp8 v[148:151], a[42:43], v[186:187], v[148:151]// 000000003958: D3F30094 0E53752A
	buffer_load_dwordx4 a[108:111], v34, s[92:95], 0 offen offset:3072// 000000003960: E05C1C00 80976C22
	v_mfma_f32_16x16x32_fp8_fp8 v[148:151], a[44:45], v[188:189], v[148:151]// 000000003968: D3F30094 0E53792C
	v_mfma_f32_16x16x32_fp8_fp8 v[148:151], a[46:47], v[190:191], v[148:151]// 000000003970: D3F30094 0E537D2E
	s_waitcnt vmcnt(20)                                        // 000000003978: BF8C4F74
	v_mfma_f32_16x16x32_fp8_fp8 v[152:155], a[48:49], v[160:161], v[152:155]// 00000000397C: D3F30098 0E634130
	v_mfma_f32_16x16x32_fp8_fp8 v[152:155], a[50:51], v[162:163], v[152:155]// 000000003984: D3F30098 0E634532
	buffer_load_dwordx4 a[112:115], v35, s[92:95], 0 offen     // 00000000398C: E05C1000 80977023
	v_mfma_f32_16x16x32_fp8_fp8 v[152:155], a[52:53], v[164:165], v[152:155]// 000000003994: D3F30098 0E634934
	v_mfma_f32_16x16x32_fp8_fp8 v[152:155], a[54:55], v[166:167], v[152:155]// 00000000399C: D3F30098 0E634D36
	v_mfma_f32_16x16x32_fp8_fp8 v[152:155], a[56:57], v[168:169], v[152:155]// 0000000039A4: D3F30098 0E635138
	v_mfma_f32_16x16x32_fp8_fp8 v[152:155], a[58:59], v[170:171], v[152:155]// 0000000039AC: D3F30098 0E63553A
	buffer_load_dwordx4 a[116:119], v35, s[92:95], 0 offen offset:1024// 0000000039B4: E05C1400 80977423
	v_mfma_f32_16x16x32_fp8_fp8 v[152:155], a[60:61], v[172:173], v[152:155]// 0000000039BC: D3F30098 0E63593C
	v_mfma_f32_16x16x32_fp8_fp8 v[152:155], a[62:63], v[174:175], v[152:155]// 0000000039C4: D3F30098 0E635D3E
	v_mfma_f32_16x16x32_fp8_fp8 v[156:159], a[48:49], v[176:177], v[156:159]// 0000000039CC: D3F3009C 0E736130
	v_mfma_f32_16x16x32_fp8_fp8 v[156:159], a[50:51], v[178:179], v[156:159]// 0000000039D4: D3F3009C 0E736532
	buffer_load_dwordx4 a[120:123], v35, s[92:95], 0 offen offset:2048// 0000000039DC: E05C1800 80977823
	v_mfma_f32_16x16x32_fp8_fp8 v[156:159], a[52:53], v[180:181], v[156:159]// 0000000039E4: D3F3009C 0E736934
	v_mfma_f32_16x16x32_fp8_fp8 v[156:159], a[54:55], v[182:183], v[156:159]// 0000000039EC: D3F3009C 0E736D36
	v_mfma_f32_16x16x32_fp8_fp8 v[156:159], a[56:57], v[184:185], v[156:159]// 0000000039F4: D3F3009C 0E737138
	v_mfma_f32_16x16x32_fp8_fp8 v[156:159], a[58:59], v[186:187], v[156:159]// 0000000039FC: D3F3009C 0E73753A
	buffer_load_dwordx4 a[124:127], v35, s[92:95], 0 offen offset:3072// 000000003A04: E05C1C00 80977C23
	v_mfma_f32_16x16x32_fp8_fp8 v[156:159], a[60:61], v[188:189], v[156:159]// 000000003A0C: D3F3009C 0E73793C
	v_mfma_f32_16x16x32_fp8_fp8 v[156:159], a[62:63], v[190:191], v[156:159]// 000000003A14: D3F3009C 0E737D3E
	s_waitcnt vmcnt(8)                                         // 000000003A1C: BF8C0F78
	s_barrier                                                  // 000000003A20: BF8A0000
	v_mfma_f32_16x16x32_fp8_fp8 v[64:67], a[64:65], v[160:161], v[64:67]// 000000003A24: D3F30040 0D034140
	v_mfma_f32_16x16x32_fp8_fp8 v[64:67], a[66:67], v[162:163], v[64:67]// 000000003A2C: D3F30040 0D034542
	buffer_load_dwordx4 a[0:3], v32, s[24:27], 0 offen         // 000000003A34: E05C1000 80860020
	v_mfma_f32_16x16x32_fp8_fp8 v[64:67], a[68:69], v[164:165], v[64:67]// 000000003A3C: D3F30040 0D034944
	v_mfma_f32_16x16x32_fp8_fp8 v[64:67], a[70:71], v[166:167], v[64:67]// 000000003A44: D3F30040 0D034D46
	v_mfma_f32_16x16x32_fp8_fp8 v[64:67], a[72:73], v[168:169], v[64:67]// 000000003A4C: D3F30040 0D035148
	v_mfma_f32_16x16x32_fp8_fp8 v[64:67], a[74:75], v[170:171], v[64:67]// 000000003A54: D3F30040 0D03554A
	buffer_load_dwordx4 a[4:7], v32, s[24:27], 0 offen offset:1024// 000000003A5C: E05C1400 80860420
	v_mfma_f32_16x16x32_fp8_fp8 v[64:67], a[76:77], v[172:173], v[64:67]// 000000003A64: D3F30040 0D03594C
	v_mfma_f32_16x16x32_fp8_fp8 v[64:67], a[78:79], v[174:175], v[64:67]// 000000003A6C: D3F30040 0D035D4E
	v_mfma_f32_16x16x32_fp8_fp8 v[68:71], a[64:65], v[176:177], v[68:71]// 000000003A74: D3F30044 0D136140
	v_mfma_f32_16x16x32_fp8_fp8 v[68:71], a[66:67], v[178:179], v[68:71]// 000000003A7C: D3F30044 0D136542
	buffer_load_dwordx4 a[8:11], v32, s[24:27], 0 offen offset:2048// 000000003A84: E05C1800 80860820
	v_mfma_f32_16x16x32_fp8_fp8 v[68:71], a[68:69], v[180:181], v[68:71]// 000000003A8C: D3F30044 0D136944
	v_mfma_f32_16x16x32_fp8_fp8 v[68:71], a[70:71], v[182:183], v[68:71]// 000000003A94: D3F30044 0D136D46
	v_mfma_f32_16x16x32_fp8_fp8 v[68:71], a[72:73], v[184:185], v[68:71]// 000000003A9C: D3F30044 0D137148
	v_mfma_f32_16x16x32_fp8_fp8 v[68:71], a[74:75], v[186:187], v[68:71]// 000000003AA4: D3F30044 0D13754A
	buffer_load_dwordx4 a[12:15], v32, s[24:27], 0 offen offset:3072// 000000003AAC: E05C1C00 80860C20
	v_mfma_f32_16x16x32_fp8_fp8 v[68:71], a[76:77], v[188:189], v[68:71]// 000000003AB4: D3F30044 0D13794C
	v_mfma_f32_16x16x32_fp8_fp8 v[68:71], a[78:79], v[190:191], v[68:71]// 000000003ABC: D3F30044 0D137D4E
	v_mfma_f32_16x16x32_fp8_fp8 v[72:75], a[80:81], v[160:161], v[72:75]// 000000003AC4: D3F30048 0D234150
	v_mfma_f32_16x16x32_fp8_fp8 v[72:75], a[82:83], v[162:163], v[72:75]// 000000003ACC: D3F30048 0D234552
	buffer_load_dwordx4 a[16:19], v33, s[24:27], 0 offen       // 000000003AD4: E05C1000 80861021
	v_mfma_f32_16x16x32_fp8_fp8 v[72:75], a[84:85], v[164:165], v[72:75]// 000000003ADC: D3F30048 0D234954
	v_mfma_f32_16x16x32_fp8_fp8 v[72:75], a[86:87], v[166:167], v[72:75]// 000000003AE4: D3F30048 0D234D56
	v_mfma_f32_16x16x32_fp8_fp8 v[72:75], a[88:89], v[168:169], v[72:75]// 000000003AEC: D3F30048 0D235158
	v_mfma_f32_16x16x32_fp8_fp8 v[72:75], a[90:91], v[170:171], v[72:75]// 000000003AF4: D3F30048 0D23555A
	buffer_load_dwordx4 a[20:23], v33, s[24:27], 0 offen offset:1024// 000000003AFC: E05C1400 80861421
	v_mfma_f32_16x16x32_fp8_fp8 v[72:75], a[92:93], v[172:173], v[72:75]// 000000003B04: D3F30048 0D23595C
	v_mfma_f32_16x16x32_fp8_fp8 v[72:75], a[94:95], v[174:175], v[72:75]// 000000003B0C: D3F30048 0D235D5E
	v_mfma_f32_16x16x32_fp8_fp8 v[76:79], a[80:81], v[176:177], v[76:79]// 000000003B14: D3F3004C 0D336150
	v_mfma_f32_16x16x32_fp8_fp8 v[76:79], a[82:83], v[178:179], v[76:79]// 000000003B1C: D3F3004C 0D336552
	buffer_load_dwordx4 a[24:27], v33, s[24:27], 0 offen offset:2048// 000000003B24: E05C1800 80861821
	v_mfma_f32_16x16x32_fp8_fp8 v[76:79], a[84:85], v[180:181], v[76:79]// 000000003B2C: D3F3004C 0D336954
	v_mfma_f32_16x16x32_fp8_fp8 v[76:79], a[86:87], v[182:183], v[76:79]// 000000003B34: D3F3004C 0D336D56
	v_mfma_f32_16x16x32_fp8_fp8 v[76:79], a[88:89], v[184:185], v[76:79]// 000000003B3C: D3F3004C 0D337158
	v_mfma_f32_16x16x32_fp8_fp8 v[76:79], a[90:91], v[186:187], v[76:79]// 000000003B44: D3F3004C 0D33755A
	buffer_load_dwordx4 a[28:31], v33, s[24:27], 0 offen offset:3072// 000000003B4C: E05C1C00 80861C21
	v_mfma_f32_16x16x32_fp8_fp8 v[76:79], a[92:93], v[188:189], v[76:79]// 000000003B54: D3F3004C 0D33795C
	v_mfma_f32_16x16x32_fp8_fp8 v[76:79], a[94:95], v[190:191], v[76:79]// 000000003B5C: D3F3004C 0D337D5E
	s_waitcnt vmcnt(12)                                        // 000000003B64: BF8C0F7C
	v_mfma_f32_16x16x32_fp8_fp8 v[80:83], a[96:97], v[160:161], v[80:83]// 000000003B68: D3F30050 0D434160
	v_mfma_f32_16x16x32_fp8_fp8 v[80:83], a[98:99], v[162:163], v[80:83]// 000000003B70: D3F30050 0D434562
	buffer_load_dwordx4 a[32:35], v34, s[24:27], 0 offen       // 000000003B78: E05C1000 80862022
	v_mfma_f32_16x16x32_fp8_fp8 v[80:83], a[100:101], v[164:165], v[80:83]// 000000003B80: D3F30050 0D434964
	v_mfma_f32_16x16x32_fp8_fp8 v[80:83], a[102:103], v[166:167], v[80:83]// 000000003B88: D3F30050 0D434D66
	ds_read_b128 v[192:195], v2 offset:8320                    // 000000003B90: D9FE2080 C0000002
	v_mfma_f32_16x16x32_fp8_fp8 v[80:83], a[104:105], v[168:169], v[80:83]// 000000003B98: D3F30050 0D435168
	v_mfma_f32_16x16x32_fp8_fp8 v[80:83], a[106:107], v[170:171], v[80:83]// 000000003BA0: D3F30050 0D43556A
	buffer_load_dwordx4 a[36:39], v34, s[24:27], 0 offen offset:1024// 000000003BA8: E05C1400 80862422
	v_mfma_f32_16x16x32_fp8_fp8 v[80:83], a[108:109], v[172:173], v[80:83]// 000000003BB0: D3F30050 0D43596C
	v_mfma_f32_16x16x32_fp8_fp8 v[80:83], a[110:111], v[174:175], v[80:83]// 000000003BB8: D3F30050 0D435D6E
	ds_read_b128 v[196:199], v2 offset:8384                    // 000000003BC0: D9FE20C0 C4000002
	v_mfma_f32_16x16x32_fp8_fp8 v[84:87], a[96:97], v[176:177], v[84:87]// 000000003BC8: D3F30054 0D536160
	v_mfma_f32_16x16x32_fp8_fp8 v[84:87], a[98:99], v[178:179], v[84:87]// 000000003BD0: D3F30054 0D536562
	buffer_load_dwordx4 a[40:43], v34, s[24:27], 0 offen offset:2048// 000000003BD8: E05C1800 80862822
	v_mfma_f32_16x16x32_fp8_fp8 v[84:87], a[100:101], v[180:181], v[84:87]// 000000003BE0: D3F30054 0D536964
	v_mfma_f32_16x16x32_fp8_fp8 v[84:87], a[102:103], v[182:183], v[84:87]// 000000003BE8: D3F30054 0D536D66
	ds_read_b128 v[200:203], v2 offset:8448                    // 000000003BF0: D9FE2100 C8000002
	v_mfma_f32_16x16x32_fp8_fp8 v[84:87], a[104:105], v[184:185], v[84:87]// 000000003BF8: D3F30054 0D537168
	v_mfma_f32_16x16x32_fp8_fp8 v[84:87], a[106:107], v[186:187], v[84:87]// 000000003C00: D3F30054 0D53756A
	buffer_load_dwordx4 a[44:47], v34, s[24:27], 0 offen offset:3072// 000000003C08: E05C1C00 80862C22
	v_mfma_f32_16x16x32_fp8_fp8 v[84:87], a[108:109], v[188:189], v[84:87]// 000000003C10: D3F30054 0D53796C
	v_mfma_f32_16x16x32_fp8_fp8 v[84:87], a[110:111], v[190:191], v[84:87]// 000000003C18: D3F30054 0D537D6E
	ds_read_b128 v[204:207], v2 offset:8512                    // 000000003C20: D9FE2140 CC000002
	s_waitcnt vmcnt(12)                                        // 000000003C28: BF8C0F7C
	v_mfma_f32_16x16x32_fp8_fp8 v[88:91], a[112:113], v[160:161], v[88:91]// 000000003C2C: D3F30058 0D634170
	v_mfma_f32_16x16x32_fp8_fp8 v[88:91], a[114:115], v[162:163], v[88:91]// 000000003C34: D3F30058 0D634572
	buffer_load_dwordx4 a[48:51], v35, s[24:27], 0 offen       // 000000003C3C: E05C1000 80863023
	v_mfma_f32_16x16x32_fp8_fp8 v[88:91], a[116:117], v[164:165], v[88:91]// 000000003C44: D3F30058 0D634974
	v_mfma_f32_16x16x32_fp8_fp8 v[88:91], a[118:119], v[166:167], v[88:91]// 000000003C4C: D3F30058 0D634D76
	ds_read_b128 v[208:211], v2 offset:9344                    // 000000003C54: D9FE2480 D0000002
	v_mfma_f32_16x16x32_fp8_fp8 v[88:91], a[120:121], v[168:169], v[88:91]// 000000003C5C: D3F30058 0D635178
	v_mfma_f32_16x16x32_fp8_fp8 v[88:91], a[122:123], v[170:171], v[88:91]// 000000003C64: D3F30058 0D63557A
	buffer_load_dwordx4 a[52:55], v35, s[24:27], 0 offen offset:1024// 000000003C6C: E05C1400 80863423
	v_mfma_f32_16x16x32_fp8_fp8 v[88:91], a[124:125], v[172:173], v[88:91]// 000000003C74: D3F30058 0D63597C
	v_mfma_f32_16x16x32_fp8_fp8 v[88:91], a[126:127], v[174:175], v[88:91]// 000000003C7C: D3F30058 0D635D7E
	ds_read_b128 v[212:215], v2 offset:9408                    // 000000003C84: D9FE24C0 D4000002
	v_mfma_f32_16x16x32_fp8_fp8 v[92:95], a[112:113], v[176:177], v[92:95]// 000000003C8C: D3F3005C 0D736170
	v_mfma_f32_16x16x32_fp8_fp8 v[92:95], a[114:115], v[178:179], v[92:95]// 000000003C94: D3F3005C 0D736572
	buffer_load_dwordx4 a[56:59], v35, s[24:27], 0 offen offset:2048// 000000003C9C: E05C1800 80863823
	v_mfma_f32_16x16x32_fp8_fp8 v[92:95], a[116:117], v[180:181], v[92:95]// 000000003CA4: D3F3005C 0D736974
	v_mfma_f32_16x16x32_fp8_fp8 v[92:95], a[118:119], v[182:183], v[92:95]// 000000003CAC: D3F3005C 0D736D76
	ds_read_b128 v[216:219], v2 offset:9472                    // 000000003CB4: D9FE2500 D8000002
	v_mfma_f32_16x16x32_fp8_fp8 v[92:95], a[120:121], v[184:185], v[92:95]// 000000003CBC: D3F3005C 0D737178
	v_mfma_f32_16x16x32_fp8_fp8 v[92:95], a[122:123], v[186:187], v[92:95]// 000000003CC4: D3F3005C 0D73757A
	buffer_load_dwordx4 a[60:63], v35, s[24:27], 0 offen offset:3072// 000000003CCC: E05C1C00 80863C23
	v_mfma_f32_16x16x32_fp8_fp8 v[92:95], a[124:125], v[188:189], v[92:95]// 000000003CD4: D3F3005C 0D73797C
	v_mfma_f32_16x16x32_fp8_fp8 v[92:95], a[126:127], v[190:191], v[92:95]// 000000003CDC: D3F3005C 0D737D7E
	ds_read_b128 v[220:223], v2 offset:9536                    // 000000003CE4: D9FE2540 DC000002
	s_add_u32 s60, 0x200, s80                                  // 000000003CEC: 803C50FF 00000200
	s_cmp_lt_u32 s60, s81                                      // 000000003CF4: BF0A513C
	s_cselect_b32 s57, s57, 0                                  // 000000003CF8: 85398039
	s_add_u32 s60, 0x200, s80                                  // 000000003CFC: 803C50FF 00000200
	s_cmp_lt_u32 s60, s81                                      // 000000003D04: BF0A513C
	s_cselect_b32 s58, s58, 0                                  // 000000003D08: 853A803A
	s_add_u32 s20, s57, s20                                    // 000000003D0C: 80141439
	s_addc_u32 s21, 0, s21                                     // 000000003D10: 82151580
	s_add_u32 s24, s58, s24                                    // 000000003D14: 8018183A
	s_addc_u32 s25, 0, s25                                     // 000000003D18: 82191980
	s_add_u32 s92, s90, s92                                    // 000000003D1C: 805C5C5A
	s_addc_u32 s93, 0, s93                                     // 000000003D20: 825D5D80
	s_addk_i32 s80, 0x100                                      // 000000003D24: B7500100
	s_cmp_lt_i32 s80, s81                                      // 000000003D28: BF045150
	s_cbranch_scc0 label_0555                                  // 000000003D2C: BF840189
	s_waitcnt vmcnt(8) lgkmcnt(0)                              // 000000003D30: BF8C0078
	s_barrier                                                  // 000000003D34: BF8A0000
	v_mfma_f32_16x16x32_fp8_fp8 v[128:131], a[0:1], v[192:193], v[128:131]// 000000003D38: D3F30080 0E038100
	v_mfma_f32_16x16x32_fp8_fp8 v[128:131], a[2:3], v[194:195], v[128:131]// 000000003D40: D3F30080 0E038502
	buffer_load_dwordx4 a[64:67], v32, s[92:95], 0 offen       // 000000003D48: E05C1000 80974020
	v_mfma_f32_16x16x32_fp8_fp8 v[128:131], a[4:5], v[196:197], v[128:131]// 000000003D50: D3F30080 0E038904
	v_mfma_f32_16x16x32_fp8_fp8 v[128:131], a[6:7], v[198:199], v[128:131]// 000000003D58: D3F30080 0E038D06
	buffer_load_dword v24, s[20:23], 0 offen lds               // 000000003D60: E0511000 80050018
	s_add_u32 m0, 0x100, s50                                   // 000000003D68: 807C32FF 00000100
	v_mfma_f32_16x16x32_fp8_fp8 v[128:131], a[8:9], v[200:201], v[128:131]// 000000003D70: D3F30080 0E039108
	v_mfma_f32_16x16x32_fp8_fp8 v[128:131], a[10:11], v[202:203], v[128:131]// 000000003D78: D3F30080 0E03950A
	buffer_load_dwordx4 a[68:71], v32, s[92:95], 0 offen offset:1024// 000000003D80: E05C1400 80974420
	v_mfma_f32_16x16x32_fp8_fp8 v[128:131], a[12:13], v[204:205], v[128:131]// 000000003D88: D3F30080 0E03990C
	v_mfma_f32_16x16x32_fp8_fp8 v[128:131], a[14:15], v[206:207], v[128:131]// 000000003D90: D3F30080 0E039D0E
	buffer_load_dword v25, s[20:23], 0 offen lds               // 000000003D98: E0511000 80050019
	s_add_u32 m0, 0x200, s50                                   // 000000003DA0: 807C32FF 00000200
	v_mfma_f32_16x16x32_fp8_fp8 v[132:135], a[0:1], v[208:209], v[132:135]// 000000003DA8: D3F30084 0E13A100
	v_mfma_f32_16x16x32_fp8_fp8 v[132:135], a[2:3], v[210:211], v[132:135]// 000000003DB0: D3F30084 0E13A502
	buffer_load_dwordx4 a[72:75], v32, s[92:95], 0 offen offset:2048// 000000003DB8: E05C1800 80974820
	v_mfma_f32_16x16x32_fp8_fp8 v[132:135], a[4:5], v[212:213], v[132:135]// 000000003DC0: D3F30084 0E13A904
	v_mfma_f32_16x16x32_fp8_fp8 v[132:135], a[6:7], v[214:215], v[132:135]// 000000003DC8: D3F30084 0E13AD06
	buffer_load_dword v26, s[20:23], 0 offen lds               // 000000003DD0: E0511000 8005001A
	s_add_u32 m0, 0x300, s50                                   // 000000003DD8: 807C32FF 00000300
	v_mfma_f32_16x16x32_fp8_fp8 v[132:135], a[8:9], v[216:217], v[132:135]// 000000003DE0: D3F30084 0E13B108
	v_mfma_f32_16x16x32_fp8_fp8 v[132:135], a[10:11], v[218:219], v[132:135]// 000000003DE8: D3F30084 0E13B50A
	buffer_load_dwordx4 a[76:79], v32, s[92:95], 0 offen offset:3072// 000000003DF0: E05C1C00 80974C20
	v_mfma_f32_16x16x32_fp8_fp8 v[132:135], a[12:13], v[220:221], v[132:135]// 000000003DF8: D3F30084 0E13B90C
	v_mfma_f32_16x16x32_fp8_fp8 v[132:135], a[14:15], v[222:223], v[132:135]// 000000003E00: D3F30084 0E13BD0E
	buffer_load_dword v27, s[20:23], 0 offen lds               // 000000003E08: E0511000 8005001B
	s_add_u32 m0, 0x400, s50                                   // 000000003E10: 807C32FF 00000400
	v_mfma_f32_16x16x32_fp8_fp8 v[136:139], a[16:17], v[192:193], v[136:139]// 000000003E18: D3F30088 0E238110
	v_mfma_f32_16x16x32_fp8_fp8 v[136:139], a[18:19], v[194:195], v[136:139]// 000000003E20: D3F30088 0E238512
	buffer_load_dwordx4 a[80:83], v33, s[92:95], 0 offen       // 000000003E28: E05C1000 80975021
	v_mfma_f32_16x16x32_fp8_fp8 v[136:139], a[20:21], v[196:197], v[136:139]// 000000003E30: D3F30088 0E238914
	v_mfma_f32_16x16x32_fp8_fp8 v[136:139], a[22:23], v[198:199], v[136:139]// 000000003E38: D3F30088 0E238D16
	buffer_load_dword v28, s[20:23], 0 offen lds               // 000000003E40: E0511000 8005001C
	s_add_u32 m0, 0x500, s50                                   // 000000003E48: 807C32FF 00000500
	v_mfma_f32_16x16x32_fp8_fp8 v[136:139], a[24:25], v[200:201], v[136:139]// 000000003E50: D3F30088 0E239118
	v_mfma_f32_16x16x32_fp8_fp8 v[136:139], a[26:27], v[202:203], v[136:139]// 000000003E58: D3F30088 0E23951A
	buffer_load_dwordx4 a[84:87], v33, s[92:95], 0 offen offset:1024// 000000003E60: E05C1400 80975421
	v_mfma_f32_16x16x32_fp8_fp8 v[136:139], a[28:29], v[204:205], v[136:139]// 000000003E68: D3F30088 0E23991C
	v_mfma_f32_16x16x32_fp8_fp8 v[136:139], a[30:31], v[206:207], v[136:139]// 000000003E70: D3F30088 0E239D1E
	buffer_load_dword v29, s[20:23], 0 offen lds               // 000000003E78: E0511000 8005001D
	s_add_u32 m0, 0x600, s50                                   // 000000003E80: 807C32FF 00000600
	v_mfma_f32_16x16x32_fp8_fp8 v[140:143], a[16:17], v[208:209], v[140:143]// 000000003E88: D3F3008C 0E33A110
	v_mfma_f32_16x16x32_fp8_fp8 v[140:143], a[18:19], v[210:211], v[140:143]// 000000003E90: D3F3008C 0E33A512
	buffer_load_dwordx4 a[88:91], v33, s[92:95], 0 offen offset:2048// 000000003E98: E05C1800 80975821
	v_mfma_f32_16x16x32_fp8_fp8 v[140:143], a[20:21], v[212:213], v[140:143]// 000000003EA0: D3F3008C 0E33A914
	v_mfma_f32_16x16x32_fp8_fp8 v[140:143], a[22:23], v[214:215], v[140:143]// 000000003EA8: D3F3008C 0E33AD16
	buffer_load_dword v30, s[20:23], 0 offen lds               // 000000003EB0: E0511000 8005001E
	s_add_u32 m0, 0x700, s50                                   // 000000003EB8: 807C32FF 00000700
	v_mfma_f32_16x16x32_fp8_fp8 v[140:143], a[24:25], v[216:217], v[140:143]// 000000003EC0: D3F3008C 0E33B118
	v_mfma_f32_16x16x32_fp8_fp8 v[140:143], a[26:27], v[218:219], v[140:143]// 000000003EC8: D3F3008C 0E33B51A
	buffer_load_dwordx4 a[92:95], v33, s[92:95], 0 offen offset:3072// 000000003ED0: E05C1C00 80975C21
	v_mfma_f32_16x16x32_fp8_fp8 v[140:143], a[28:29], v[220:221], v[140:143]// 000000003ED8: D3F3008C 0E33B91C
	v_mfma_f32_16x16x32_fp8_fp8 v[140:143], a[30:31], v[222:223], v[140:143]// 000000003EE0: D3F3008C 0E33BD1E
	buffer_load_dword v31, s[20:23], 0 offen lds               // 000000003EE8: E0511000 8005001F
	s_add_u32 m0, 0, s51                                       // 000000003EF0: 807C3380
	s_waitcnt vmcnt(20)                                        // 000000003EF4: BF8C4F74
	v_mfma_f32_16x16x32_fp8_fp8 v[144:147], a[32:33], v[192:193], v[144:147]// 000000003EF8: D3F30090 0E438120
	v_mfma_f32_16x16x32_fp8_fp8 v[144:147], a[34:35], v[194:195], v[144:147]// 000000003F00: D3F30090 0E438522
	buffer_load_dwordx4 a[96:99], v34, s[92:95], 0 offen       // 000000003F08: E05C1000 80976022
	v_mfma_f32_16x16x32_fp8_fp8 v[144:147], a[36:37], v[196:197], v[144:147]// 000000003F10: D3F30090 0E438924
	v_mfma_f32_16x16x32_fp8_fp8 v[144:147], a[38:39], v[198:199], v[144:147]// 000000003F18: D3F30090 0E438D26
	v_mfma_f32_16x16x32_fp8_fp8 v[144:147], a[40:41], v[200:201], v[144:147]// 000000003F20: D3F30090 0E439128
	v_mfma_f32_16x16x32_fp8_fp8 v[144:147], a[42:43], v[202:203], v[144:147]// 000000003F28: D3F30090 0E43952A
	buffer_load_dwordx4 a[100:103], v34, s[92:95], 0 offen offset:1024// 000000003F30: E05C1400 80976422
	v_mfma_f32_16x16x32_fp8_fp8 v[144:147], a[44:45], v[204:205], v[144:147]// 000000003F38: D3F30090 0E43992C
	v_mfma_f32_16x16x32_fp8_fp8 v[144:147], a[46:47], v[206:207], v[144:147]// 000000003F40: D3F30090 0E439D2E
	v_mfma_f32_16x16x32_fp8_fp8 v[148:151], a[32:33], v[208:209], v[148:151]// 000000003F48: D3F30094 0E53A120
	v_mfma_f32_16x16x32_fp8_fp8 v[148:151], a[34:35], v[210:211], v[148:151]// 000000003F50: D3F30094 0E53A522
	buffer_load_dwordx4 a[104:107], v34, s[92:95], 0 offen offset:2048// 000000003F58: E05C1800 80976822
	v_mfma_f32_16x16x32_fp8_fp8 v[148:151], a[36:37], v[212:213], v[148:151]// 000000003F60: D3F30094 0E53A924
	v_mfma_f32_16x16x32_fp8_fp8 v[148:151], a[38:39], v[214:215], v[148:151]// 000000003F68: D3F30094 0E53AD26
	v_mfma_f32_16x16x32_fp8_fp8 v[148:151], a[40:41], v[216:217], v[148:151]// 000000003F70: D3F30094 0E53B128
	v_mfma_f32_16x16x32_fp8_fp8 v[148:151], a[42:43], v[218:219], v[148:151]// 000000003F78: D3F30094 0E53B52A
	buffer_load_dwordx4 a[108:111], v34, s[92:95], 0 offen offset:3072// 000000003F80: E05C1C00 80976C22
	v_mfma_f32_16x16x32_fp8_fp8 v[148:151], a[44:45], v[220:221], v[148:151]// 000000003F88: D3F30094 0E53B92C
	v_mfma_f32_16x16x32_fp8_fp8 v[148:151], a[46:47], v[222:223], v[148:151]// 000000003F90: D3F30094 0E53BD2E
	s_waitcnt vmcnt(20)                                        // 000000003F98: BF8C4F74
	v_mfma_f32_16x16x32_fp8_fp8 v[152:155], a[48:49], v[192:193], v[152:155]// 000000003F9C: D3F30098 0E638130
	v_mfma_f32_16x16x32_fp8_fp8 v[152:155], a[50:51], v[194:195], v[152:155]// 000000003FA4: D3F30098 0E638532
	buffer_load_dwordx4 a[112:115], v35, s[92:95], 0 offen     // 000000003FAC: E05C1000 80977023
	v_mfma_f32_16x16x32_fp8_fp8 v[152:155], a[52:53], v[196:197], v[152:155]// 000000003FB4: D3F30098 0E638934
	v_mfma_f32_16x16x32_fp8_fp8 v[152:155], a[54:55], v[198:199], v[152:155]// 000000003FBC: D3F30098 0E638D36
	v_mfma_f32_16x16x32_fp8_fp8 v[152:155], a[56:57], v[200:201], v[152:155]// 000000003FC4: D3F30098 0E639138
	v_mfma_f32_16x16x32_fp8_fp8 v[152:155], a[58:59], v[202:203], v[152:155]// 000000003FCC: D3F30098 0E63953A
	buffer_load_dwordx4 a[116:119], v35, s[92:95], 0 offen offset:1024// 000000003FD4: E05C1400 80977423
	v_mfma_f32_16x16x32_fp8_fp8 v[152:155], a[60:61], v[204:205], v[152:155]// 000000003FDC: D3F30098 0E63993C
	v_mfma_f32_16x16x32_fp8_fp8 v[152:155], a[62:63], v[206:207], v[152:155]// 000000003FE4: D3F30098 0E639D3E
	v_mfma_f32_16x16x32_fp8_fp8 v[156:159], a[48:49], v[208:209], v[156:159]// 000000003FEC: D3F3009C 0E73A130
	v_mfma_f32_16x16x32_fp8_fp8 v[156:159], a[50:51], v[210:211], v[156:159]// 000000003FF4: D3F3009C 0E73A532
	buffer_load_dwordx4 a[120:123], v35, s[92:95], 0 offen offset:2048// 000000003FFC: E05C1800 80977823
	v_mfma_f32_16x16x32_fp8_fp8 v[156:159], a[52:53], v[212:213], v[156:159]// 000000004004: D3F3009C 0E73A934
	v_mfma_f32_16x16x32_fp8_fp8 v[156:159], a[54:55], v[214:215], v[156:159]// 00000000400C: D3F3009C 0E73AD36
	v_mfma_f32_16x16x32_fp8_fp8 v[156:159], a[56:57], v[216:217], v[156:159]// 000000004014: D3F3009C 0E73B138
	v_mfma_f32_16x16x32_fp8_fp8 v[156:159], a[58:59], v[218:219], v[156:159]// 00000000401C: D3F3009C 0E73B53A
	buffer_load_dwordx4 a[124:127], v35, s[92:95], 0 offen offset:3072// 000000004024: E05C1C00 80977C23
	v_mfma_f32_16x16x32_fp8_fp8 v[156:159], a[60:61], v[220:221], v[156:159]// 00000000402C: D3F3009C 0E73B93C
	v_mfma_f32_16x16x32_fp8_fp8 v[156:159], a[62:63], v[222:223], v[156:159]// 000000004034: D3F3009C 0E73BD3E
	s_waitcnt vmcnt(8)                                         // 00000000403C: BF8C0F78
	s_barrier                                                  // 000000004040: BF8A0000
	v_mfma_f32_16x16x32_fp8_fp8 v[64:67], a[64:65], v[192:193], v[64:67]// 000000004044: D3F30040 0D038140
	v_mfma_f32_16x16x32_fp8_fp8 v[64:67], a[66:67], v[194:195], v[64:67]// 00000000404C: D3F30040 0D038542
	buffer_load_dwordx4 a[0:3], v32, s[24:27], 0 offen         // 000000004054: E05C1000 80860020
	v_mfma_f32_16x16x32_fp8_fp8 v[64:67], a[68:69], v[196:197], v[64:67]// 00000000405C: D3F30040 0D038944
	v_mfma_f32_16x16x32_fp8_fp8 v[64:67], a[70:71], v[198:199], v[64:67]// 000000004064: D3F30040 0D038D46
	v_mfma_f32_16x16x32_fp8_fp8 v[64:67], a[72:73], v[200:201], v[64:67]// 00000000406C: D3F30040 0D039148
	v_mfma_f32_16x16x32_fp8_fp8 v[64:67], a[74:75], v[202:203], v[64:67]// 000000004074: D3F30040 0D03954A
	buffer_load_dwordx4 a[4:7], v32, s[24:27], 0 offen offset:1024// 00000000407C: E05C1400 80860420
	v_mfma_f32_16x16x32_fp8_fp8 v[64:67], a[76:77], v[204:205], v[64:67]// 000000004084: D3F30040 0D03994C
	v_mfma_f32_16x16x32_fp8_fp8 v[64:67], a[78:79], v[206:207], v[64:67]// 00000000408C: D3F30040 0D039D4E
	v_mfma_f32_16x16x32_fp8_fp8 v[68:71], a[64:65], v[208:209], v[68:71]// 000000004094: D3F30044 0D13A140
	v_mfma_f32_16x16x32_fp8_fp8 v[68:71], a[66:67], v[210:211], v[68:71]// 00000000409C: D3F30044 0D13A542
	buffer_load_dwordx4 a[8:11], v32, s[24:27], 0 offen offset:2048// 0000000040A4: E05C1800 80860820
	v_mfma_f32_16x16x32_fp8_fp8 v[68:71], a[68:69], v[212:213], v[68:71]// 0000000040AC: D3F30044 0D13A944
	v_mfma_f32_16x16x32_fp8_fp8 v[68:71], a[70:71], v[214:215], v[68:71]// 0000000040B4: D3F30044 0D13AD46
	v_mfma_f32_16x16x32_fp8_fp8 v[68:71], a[72:73], v[216:217], v[68:71]// 0000000040BC: D3F30044 0D13B148
	v_mfma_f32_16x16x32_fp8_fp8 v[68:71], a[74:75], v[218:219], v[68:71]// 0000000040C4: D3F30044 0D13B54A
	buffer_load_dwordx4 a[12:15], v32, s[24:27], 0 offen offset:3072// 0000000040CC: E05C1C00 80860C20
	v_mfma_f32_16x16x32_fp8_fp8 v[68:71], a[76:77], v[220:221], v[68:71]// 0000000040D4: D3F30044 0D13B94C
	v_mfma_f32_16x16x32_fp8_fp8 v[68:71], a[78:79], v[222:223], v[68:71]// 0000000040DC: D3F30044 0D13BD4E
	v_mfma_f32_16x16x32_fp8_fp8 v[72:75], a[80:81], v[192:193], v[72:75]// 0000000040E4: D3F30048 0D238150
	v_mfma_f32_16x16x32_fp8_fp8 v[72:75], a[82:83], v[194:195], v[72:75]// 0000000040EC: D3F30048 0D238552
	buffer_load_dwordx4 a[16:19], v33, s[24:27], 0 offen       // 0000000040F4: E05C1000 80861021
	v_mfma_f32_16x16x32_fp8_fp8 v[72:75], a[84:85], v[196:197], v[72:75]// 0000000040FC: D3F30048 0D238954
	v_mfma_f32_16x16x32_fp8_fp8 v[72:75], a[86:87], v[198:199], v[72:75]// 000000004104: D3F30048 0D238D56
	v_mfma_f32_16x16x32_fp8_fp8 v[72:75], a[88:89], v[200:201], v[72:75]// 00000000410C: D3F30048 0D239158
	v_mfma_f32_16x16x32_fp8_fp8 v[72:75], a[90:91], v[202:203], v[72:75]// 000000004114: D3F30048 0D23955A
	buffer_load_dwordx4 a[20:23], v33, s[24:27], 0 offen offset:1024// 00000000411C: E05C1400 80861421
	v_mfma_f32_16x16x32_fp8_fp8 v[72:75], a[92:93], v[204:205], v[72:75]// 000000004124: D3F30048 0D23995C
	v_mfma_f32_16x16x32_fp8_fp8 v[72:75], a[94:95], v[206:207], v[72:75]// 00000000412C: D3F30048 0D239D5E
	v_mfma_f32_16x16x32_fp8_fp8 v[76:79], a[80:81], v[208:209], v[76:79]// 000000004134: D3F3004C 0D33A150
	v_mfma_f32_16x16x32_fp8_fp8 v[76:79], a[82:83], v[210:211], v[76:79]// 00000000413C: D3F3004C 0D33A552
	buffer_load_dwordx4 a[24:27], v33, s[24:27], 0 offen offset:2048// 000000004144: E05C1800 80861821
	v_mfma_f32_16x16x32_fp8_fp8 v[76:79], a[84:85], v[212:213], v[76:79]// 00000000414C: D3F3004C 0D33A954
	v_mfma_f32_16x16x32_fp8_fp8 v[76:79], a[86:87], v[214:215], v[76:79]// 000000004154: D3F3004C 0D33AD56
	v_mfma_f32_16x16x32_fp8_fp8 v[76:79], a[88:89], v[216:217], v[76:79]// 00000000415C: D3F3004C 0D33B158
	v_mfma_f32_16x16x32_fp8_fp8 v[76:79], a[90:91], v[218:219], v[76:79]// 000000004164: D3F3004C 0D33B55A
	buffer_load_dwordx4 a[28:31], v33, s[24:27], 0 offen offset:3072// 00000000416C: E05C1C00 80861C21
	v_mfma_f32_16x16x32_fp8_fp8 v[76:79], a[92:93], v[220:221], v[76:79]// 000000004174: D3F3004C 0D33B95C
	v_mfma_f32_16x16x32_fp8_fp8 v[76:79], a[94:95], v[222:223], v[76:79]// 00000000417C: D3F3004C 0D33BD5E
	s_waitcnt vmcnt(12)                                        // 000000004184: BF8C0F7C
	v_mfma_f32_16x16x32_fp8_fp8 v[80:83], a[96:97], v[192:193], v[80:83]// 000000004188: D3F30050 0D438160
	v_mfma_f32_16x16x32_fp8_fp8 v[80:83], a[98:99], v[194:195], v[80:83]// 000000004190: D3F30050 0D438562
	buffer_load_dwordx4 a[32:35], v34, s[24:27], 0 offen       // 000000004198: E05C1000 80862022
	v_mfma_f32_16x16x32_fp8_fp8 v[80:83], a[100:101], v[196:197], v[80:83]// 0000000041A0: D3F30050 0D438964
	v_mfma_f32_16x16x32_fp8_fp8 v[80:83], a[102:103], v[198:199], v[80:83]// 0000000041A8: D3F30050 0D438D66
	ds_read_b128 v[160:163], v2                                // 0000000041B0: D9FE0000 A0000002
	v_mfma_f32_16x16x32_fp8_fp8 v[80:83], a[104:105], v[200:201], v[80:83]// 0000000041B8: D3F30050 0D439168
	v_mfma_f32_16x16x32_fp8_fp8 v[80:83], a[106:107], v[202:203], v[80:83]// 0000000041C0: D3F30050 0D43956A
	buffer_load_dwordx4 a[36:39], v34, s[24:27], 0 offen offset:1024// 0000000041C8: E05C1400 80862422
	v_mfma_f32_16x16x32_fp8_fp8 v[80:83], a[108:109], v[204:205], v[80:83]// 0000000041D0: D3F30050 0D43996C
	v_mfma_f32_16x16x32_fp8_fp8 v[80:83], a[110:111], v[206:207], v[80:83]// 0000000041D8: D3F30050 0D439D6E
	ds_read_b128 v[164:167], v2 offset:64                      // 0000000041E0: D9FE0040 A4000002
	v_mfma_f32_16x16x32_fp8_fp8 v[84:87], a[96:97], v[208:209], v[84:87]// 0000000041E8: D3F30054 0D53A160
	v_mfma_f32_16x16x32_fp8_fp8 v[84:87], a[98:99], v[210:211], v[84:87]// 0000000041F0: D3F30054 0D53A562
	buffer_load_dwordx4 a[40:43], v34, s[24:27], 0 offen offset:2048// 0000000041F8: E05C1800 80862822
	v_mfma_f32_16x16x32_fp8_fp8 v[84:87], a[100:101], v[212:213], v[84:87]// 000000004200: D3F30054 0D53A964
	v_mfma_f32_16x16x32_fp8_fp8 v[84:87], a[102:103], v[214:215], v[84:87]// 000000004208: D3F30054 0D53AD66
	ds_read_b128 v[168:171], v2 offset:128                     // 000000004210: D9FE0080 A8000002
	v_mfma_f32_16x16x32_fp8_fp8 v[84:87], a[104:105], v[216:217], v[84:87]// 000000004218: D3F30054 0D53B168
	v_mfma_f32_16x16x32_fp8_fp8 v[84:87], a[106:107], v[218:219], v[84:87]// 000000004220: D3F30054 0D53B56A
	buffer_load_dwordx4 a[44:47], v34, s[24:27], 0 offen offset:3072// 000000004228: E05C1C00 80862C22
	v_mfma_f32_16x16x32_fp8_fp8 v[84:87], a[108:109], v[220:221], v[84:87]// 000000004230: D3F30054 0D53B96C
	v_mfma_f32_16x16x32_fp8_fp8 v[84:87], a[110:111], v[222:223], v[84:87]// 000000004238: D3F30054 0D53BD6E
	ds_read_b128 v[172:175], v2 offset:192                     // 000000004240: D9FE00C0 AC000002
	s_waitcnt vmcnt(12)                                        // 000000004248: BF8C0F7C
	v_mfma_f32_16x16x32_fp8_fp8 v[88:91], a[112:113], v[192:193], v[88:91]// 00000000424C: D3F30058 0D638170
	v_mfma_f32_16x16x32_fp8_fp8 v[88:91], a[114:115], v[194:195], v[88:91]// 000000004254: D3F30058 0D638572
	buffer_load_dwordx4 a[48:51], v35, s[24:27], 0 offen       // 00000000425C: E05C1000 80863023
	v_mfma_f32_16x16x32_fp8_fp8 v[88:91], a[116:117], v[196:197], v[88:91]// 000000004264: D3F30058 0D638974
	v_mfma_f32_16x16x32_fp8_fp8 v[88:91], a[118:119], v[198:199], v[88:91]// 00000000426C: D3F30058 0D638D76
	ds_read_b128 v[176:179], v2 offset:1024                    // 000000004274: D9FE0400 B0000002
	v_mfma_f32_16x16x32_fp8_fp8 v[88:91], a[120:121], v[200:201], v[88:91]// 00000000427C: D3F30058 0D639178
	v_mfma_f32_16x16x32_fp8_fp8 v[88:91], a[122:123], v[202:203], v[88:91]// 000000004284: D3F30058 0D63957A
	buffer_load_dwordx4 a[52:55], v35, s[24:27], 0 offen offset:1024// 00000000428C: E05C1400 80863423
	v_mfma_f32_16x16x32_fp8_fp8 v[88:91], a[124:125], v[204:205], v[88:91]// 000000004294: D3F30058 0D63997C
	v_mfma_f32_16x16x32_fp8_fp8 v[88:91], a[126:127], v[206:207], v[88:91]// 00000000429C: D3F30058 0D639D7E
	ds_read_b128 v[180:183], v2 offset:1088                    // 0000000042A4: D9FE0440 B4000002
	v_mfma_f32_16x16x32_fp8_fp8 v[92:95], a[112:113], v[208:209], v[92:95]// 0000000042AC: D3F3005C 0D73A170
	v_mfma_f32_16x16x32_fp8_fp8 v[92:95], a[114:115], v[210:211], v[92:95]// 0000000042B4: D3F3005C 0D73A572
	buffer_load_dwordx4 a[56:59], v35, s[24:27], 0 offen offset:2048// 0000000042BC: E05C1800 80863823
	v_mfma_f32_16x16x32_fp8_fp8 v[92:95], a[116:117], v[212:213], v[92:95]// 0000000042C4: D3F3005C 0D73A974
	v_mfma_f32_16x16x32_fp8_fp8 v[92:95], a[118:119], v[214:215], v[92:95]// 0000000042CC: D3F3005C 0D73AD76
	ds_read_b128 v[184:187], v2 offset:1152                    // 0000000042D4: D9FE0480 B8000002
	v_mfma_f32_16x16x32_fp8_fp8 v[92:95], a[120:121], v[216:217], v[92:95]// 0000000042DC: D3F3005C 0D73B178
	v_mfma_f32_16x16x32_fp8_fp8 v[92:95], a[122:123], v[218:219], v[92:95]// 0000000042E4: D3F3005C 0D73B57A
	buffer_load_dwordx4 a[60:63], v35, s[24:27], 0 offen offset:3072// 0000000042EC: E05C1C00 80863C23
	v_mfma_f32_16x16x32_fp8_fp8 v[92:95], a[124:125], v[220:221], v[92:95]// 0000000042F4: D3F3005C 0D73B97C
	v_mfma_f32_16x16x32_fp8_fp8 v[92:95], a[126:127], v[222:223], v[92:95]// 0000000042FC: D3F3005C 0D73BD7E
	ds_read_b128 v[188:191], v2 offset:1216                    // 000000004304: D9FE04C0 BC000002
	s_add_u32 s60, 0x200, s80                                  // 00000000430C: 803C50FF 00000200
	s_cmp_lt_u32 s60, s81                                      // 000000004314: BF0A513C
	s_cselect_b32 s57, s57, 0                                  // 000000004318: 85398039
	s_add_u32 s60, 0x200, s80                                  // 00000000431C: 803C50FF 00000200
	s_cmp_lt_u32 s60, s81                                      // 000000004324: BF0A513C
	s_cselect_b32 s58, s58, 0                                  // 000000004328: 853A803A
	s_add_u32 s20, s57, s20                                    // 00000000432C: 80141439
	s_addc_u32 s21, 0, s21                                     // 000000004330: 82151580
	s_add_u32 s24, s58, s24                                    // 000000004334: 8018183A
	s_addc_u32 s25, 0, s25                                     // 000000004338: 82191980
	s_add_u32 s92, s90, s92                                    // 00000000433C: 805C5C5A
	s_addc_u32 s93, 0, s93                                     // 000000004340: 825D5D80
	s_addk_i32 s80, 0x100                                      // 000000004344: B7500100
	s_cmp_lt_i32 s80, s81                                      // 000000004348: BF045150
	s_cbranch_scc0 label_0555                                  // 00000000434C: BF840001
	s_branch label_0244                                        // 000000004350: BF82FCEF

0000000000004354 <label_0555>:
	s_mov_b32 s36, -1                                          // 000000004354: BEA400C1
	s_mov_b32 s37, -1                                          // 000000004358: BEA500C1
	s_mov_b64 s[60:61], 0                                      // 00000000435C: BEBC0180
	s_cmp_lt_u32 s82, s66                                      // 000000004360: BF0A4252
	s_cselect_b64 s[20:21], s[36:37], s[60:61]                 // 000000004364: 85943C24
	s_cmp_lt_u32 s83, s66                                      // 000000004368: BF0A4253
	s_cselect_b64 s[22:23], s[36:37], s[60:61]                 // 00000000436C: 85963C24
	s_cmp_lt_u32 s84, s66                                      // 000000004370: BF0A4254
	s_cselect_b64 s[24:25], s[36:37], s[60:61]                 // 000000004374: 85983C24
	s_cmp_lt_u32 s85, s66                                      // 000000004378: BF0A4255
	s_cselect_b64 s[26:27], s[36:37], s[60:61]                 // 00000000437C: 859A3C24
	s_cmp_lt_u32 s86, s66                                      // 000000004380: BF0A4256
	s_cselect_b64 s[28:29], s[36:37], s[60:61]                 // 000000004384: 859C3C24
	s_cmp_lt_u32 s87, s66                                      // 000000004388: BF0A4257
	s_cselect_b64 s[30:31], s[36:37], s[60:61]                 // 00000000438C: 859E3C24
	s_cmp_lt_u32 s88, s66                                      // 000000004390: BF0A4258
	s_cselect_b64 s[32:33], s[36:37], s[60:61]                 // 000000004394: 85A03C24
	s_cmp_lt_u32 s89, s66                                      // 000000004398: BF0A4259
	s_cselect_b64 s[34:35], s[36:37], s[60:61]                 // 00000000439C: 85A23C24
	v_mul_f32_e32 v128, v13, v128                              // 0000000043A0: 0B01010D
	v_mul_f32_e32 v128, v17, v128                              // 0000000043A4: 0B010111
	v_mul_f32_e32 v129, v13, v129                              // 0000000043A8: 0B03030D
	v_mul_f32_e32 v129, v17, v129                              // 0000000043AC: 0B030311
	v_mul_f32_e32 v130, v13, v130                              // 0000000043B0: 0B05050D
	v_mul_f32_e32 v130, v17, v130                              // 0000000043B4: 0B050511
	v_mul_f32_e32 v131, v13, v131                              // 0000000043B8: 0B07070D
	v_mul_f32_e32 v131, v17, v131                              // 0000000043BC: 0B070711
	v_mul_f32_dpp v128, v15, v128 row_newbcast:0 row_mask:0xf bank_mask:0xf// 0000000043C0: 0B0100FA FF01500F
	v_mul_f32_dpp v129, v15, v129 row_newbcast:1 row_mask:0xf bank_mask:0xf// 0000000043C8: 0B0302FA FF01510F
	v_mul_f32_dpp v130, v15, v130 row_newbcast:2 row_mask:0xf bank_mask:0xf// 0000000043D0: 0B0504FA FF01520F
	v_mul_f32_dpp v131, v15, v131 row_newbcast:3 row_mask:0xf bank_mask:0xf// 0000000043D8: 0B0706FA FF01530F
	v_mul_f32_e32 v132, v14, v132                              // 0000000043E0: 0B09090E
	v_mul_f32_e32 v132, v18, v132                              // 0000000043E4: 0B090912
	v_mul_f32_e32 v133, v14, v133                              // 0000000043E8: 0B0B0B0E
	v_mul_f32_e32 v133, v18, v133                              // 0000000043EC: 0B0B0B12
	v_mul_f32_e32 v134, v14, v134                              // 0000000043F0: 0B0D0D0E
	v_mul_f32_e32 v134, v18, v134                              // 0000000043F4: 0B0D0D12
	v_mul_f32_e32 v135, v14, v135                              // 0000000043F8: 0B0F0F0E
	v_mul_f32_e32 v135, v18, v135                              // 0000000043FC: 0B0F0F12
	v_mul_f32_dpp v132, v15, v132 row_newbcast:0 row_mask:0xf bank_mask:0xf// 000000004400: 0B0908FA FF01500F
	v_mul_f32_dpp v133, v15, v133 row_newbcast:1 row_mask:0xf bank_mask:0xf// 000000004408: 0B0B0AFA FF01510F
	v_mul_f32_dpp v134, v15, v134 row_newbcast:2 row_mask:0xf bank_mask:0xf// 000000004410: 0B0D0CFA FF01520F
	v_mul_f32_dpp v135, v15, v135 row_newbcast:3 row_mask:0xf bank_mask:0xf// 000000004418: 0B0F0EFA FF01530F
	v_mul_f32_e32 v136, v13, v136                              // 000000004420: 0B11110D
	v_mul_f32_e32 v136, v17, v136                              // 000000004424: 0B111111
	v_mul_f32_e32 v137, v13, v137                              // 000000004428: 0B13130D
	v_mul_f32_e32 v137, v17, v137                              // 00000000442C: 0B131311
	v_mul_f32_e32 v138, v13, v138                              // 000000004430: 0B15150D
	v_mul_f32_e32 v138, v17, v138                              // 000000004434: 0B151511
	v_mul_f32_e32 v139, v13, v139                              // 000000004438: 0B17170D
	v_mul_f32_e32 v139, v17, v139                              // 00000000443C: 0B171711
	v_mul_f32_dpp v136, v15, v136 row_newbcast:4 row_mask:0xf bank_mask:0xf// 000000004440: 0B1110FA FF01540F
	v_mul_f32_dpp v137, v15, v137 row_newbcast:5 row_mask:0xf bank_mask:0xf// 000000004448: 0B1312FA FF01550F
	v_mul_f32_dpp v138, v15, v138 row_newbcast:6 row_mask:0xf bank_mask:0xf// 000000004450: 0B1514FA FF01560F
	v_mul_f32_dpp v139, v15, v139 row_newbcast:7 row_mask:0xf bank_mask:0xf// 000000004458: 0B1716FA FF01570F
	v_mul_f32_e32 v140, v14, v140                              // 000000004460: 0B19190E
	v_mul_f32_e32 v140, v18, v140                              // 000000004464: 0B191912
	v_mul_f32_e32 v141, v14, v141                              // 000000004468: 0B1B1B0E
	v_mul_f32_e32 v141, v18, v141                              // 00000000446C: 0B1B1B12
	v_mul_f32_e32 v142, v14, v142                              // 000000004470: 0B1D1D0E
	v_mul_f32_e32 v142, v18, v142                              // 000000004474: 0B1D1D12
	v_mul_f32_e32 v143, v14, v143                              // 000000004478: 0B1F1F0E
	v_mul_f32_e32 v143, v18, v143                              // 00000000447C: 0B1F1F12
	v_mul_f32_dpp v140, v15, v140 row_newbcast:4 row_mask:0xf bank_mask:0xf// 000000004480: 0B1918FA FF01540F
	v_mul_f32_dpp v141, v15, v141 row_newbcast:5 row_mask:0xf bank_mask:0xf// 000000004488: 0B1B1AFA FF01550F
	v_mul_f32_dpp v142, v15, v142 row_newbcast:6 row_mask:0xf bank_mask:0xf// 000000004490: 0B1D1CFA FF01560F
	v_mul_f32_dpp v143, v15, v143 row_newbcast:7 row_mask:0xf bank_mask:0xf// 000000004498: 0B1F1EFA FF01570F
	v_mul_f32_e32 v144, v13, v144                              // 0000000044A0: 0B21210D
	v_mul_f32_e32 v144, v17, v144                              // 0000000044A4: 0B212111
	v_mul_f32_e32 v145, v13, v145                              // 0000000044A8: 0B23230D
	v_mul_f32_e32 v145, v17, v145                              // 0000000044AC: 0B232311
	v_mul_f32_e32 v146, v13, v146                              // 0000000044B0: 0B25250D
	v_mul_f32_e32 v146, v17, v146                              // 0000000044B4: 0B252511
	v_mul_f32_e32 v147, v13, v147                              // 0000000044B8: 0B27270D
	v_mul_f32_e32 v147, v17, v147                              // 0000000044BC: 0B272711
	v_mul_f32_dpp v144, v15, v144 row_newbcast:8 row_mask:0xf bank_mask:0xf// 0000000044C0: 0B2120FA FF01580F
	v_mul_f32_dpp v145, v15, v145 row_newbcast:9 row_mask:0xf bank_mask:0xf// 0000000044C8: 0B2322FA FF01590F
	v_mul_f32_dpp v146, v15, v146 row_newbcast:10 row_mask:0xf bank_mask:0xf// 0000000044D0: 0B2524FA FF015A0F
	v_mul_f32_dpp v147, v15, v147 row_newbcast:11 row_mask:0xf bank_mask:0xf// 0000000044D8: 0B2726FA FF015B0F
	v_mul_f32_e32 v148, v14, v148                              // 0000000044E0: 0B29290E
	v_mul_f32_e32 v148, v18, v148                              // 0000000044E4: 0B292912
	v_mul_f32_e32 v149, v14, v149                              // 0000000044E8: 0B2B2B0E
	v_mul_f32_e32 v149, v18, v149                              // 0000000044EC: 0B2B2B12
	v_mul_f32_e32 v150, v14, v150                              // 0000000044F0: 0B2D2D0E
	v_mul_f32_e32 v150, v18, v150                              // 0000000044F4: 0B2D2D12
	v_mul_f32_e32 v151, v14, v151                              // 0000000044F8: 0B2F2F0E
	v_mul_f32_e32 v151, v18, v151                              // 0000000044FC: 0B2F2F12
	v_mul_f32_dpp v148, v15, v148 row_newbcast:8 row_mask:0xf bank_mask:0xf// 000000004500: 0B2928FA FF01580F
	v_mul_f32_dpp v149, v15, v149 row_newbcast:9 row_mask:0xf bank_mask:0xf// 000000004508: 0B2B2AFA FF01590F
	v_mul_f32_dpp v150, v15, v150 row_newbcast:10 row_mask:0xf bank_mask:0xf// 000000004510: 0B2D2CFA FF015A0F
	v_mul_f32_dpp v151, v15, v151 row_newbcast:11 row_mask:0xf bank_mask:0xf// 000000004518: 0B2F2EFA FF015B0F
	v_mul_f32_e32 v152, v13, v152                              // 000000004520: 0B31310D
	v_mul_f32_e32 v152, v17, v152                              // 000000004524: 0B313111
	v_mul_f32_e32 v153, v13, v153                              // 000000004528: 0B33330D
	v_mul_f32_e32 v153, v17, v153                              // 00000000452C: 0B333311
	v_mul_f32_e32 v154, v13, v154                              // 000000004530: 0B35350D
	v_mul_f32_e32 v154, v17, v154                              // 000000004534: 0B353511
	v_mul_f32_e32 v155, v13, v155                              // 000000004538: 0B37370D
	v_mul_f32_e32 v155, v17, v155                              // 00000000453C: 0B373711
	v_mul_f32_dpp v152, v15, v152 row_newbcast:12 row_mask:0xf bank_mask:0xf// 000000004540: 0B3130FA FF015C0F
	v_mul_f32_dpp v153, v15, v153 row_newbcast:13 row_mask:0xf bank_mask:0xf// 000000004548: 0B3332FA FF015D0F
	v_mul_f32_dpp v154, v15, v154 row_newbcast:14 row_mask:0xf bank_mask:0xf// 000000004550: 0B3534FA FF015E0F
	v_mul_f32_dpp v155, v15, v155 row_newbcast:15 row_mask:0xf bank_mask:0xf// 000000004558: 0B3736FA FF015F0F
	v_mul_f32_e32 v156, v14, v156                              // 000000004560: 0B39390E
	v_mul_f32_e32 v156, v18, v156                              // 000000004564: 0B393912
	v_mul_f32_e32 v157, v14, v157                              // 000000004568: 0B3B3B0E
	v_mul_f32_e32 v157, v18, v157                              // 00000000456C: 0B3B3B12
	v_mul_f32_e32 v158, v14, v158                              // 000000004570: 0B3D3D0E
	v_mul_f32_e32 v158, v18, v158                              // 000000004574: 0B3D3D12
	v_mul_f32_e32 v159, v14, v159                              // 000000004578: 0B3F3F0E
	v_mul_f32_e32 v159, v18, v159                              // 00000000457C: 0B3F3F12
	v_mul_f32_dpp v156, v15, v156 row_newbcast:12 row_mask:0xf bank_mask:0xf// 000000004580: 0B3938FA FF015C0F
	v_mul_f32_dpp v157, v15, v157 row_newbcast:13 row_mask:0xf bank_mask:0xf// 000000004588: 0B3B3AFA FF015D0F
	v_mul_f32_dpp v158, v15, v158 row_newbcast:14 row_mask:0xf bank_mask:0xf// 000000004590: 0B3D3CFA FF015E0F
	v_mul_f32_dpp v159, v15, v159 row_newbcast:15 row_mask:0xf bank_mask:0xf// 000000004598: 0B3F3EFA FF015F0F
	v_mul_f32_e32 v64, v13, v64                                // 0000000045A0: 0A80810D
	v_mul_f32_e32 v64, v17, v64                                // 0000000045A4: 0A808111
	v_mul_f32_e32 v65, v13, v65                                // 0000000045A8: 0A82830D
	v_mul_f32_e32 v65, v17, v65                                // 0000000045AC: 0A828311
	v_mul_f32_e32 v66, v13, v66                                // 0000000045B0: 0A84850D
	v_mul_f32_e32 v66, v17, v66                                // 0000000045B4: 0A848511
	v_mul_f32_e32 v67, v13, v67                                // 0000000045B8: 0A86870D
	v_mul_f32_e32 v67, v17, v67                                // 0000000045BC: 0A868711
	v_mul_f32_dpp v64, v44, v64 row_newbcast:0 row_mask:0xf bank_mask:0xf// 0000000045C0: 0A8080FA FF01502C
	v_mul_f32_dpp v65, v44, v65 row_newbcast:1 row_mask:0xf bank_mask:0xf// 0000000045C8: 0A8282FA FF01512C
	v_mul_f32_dpp v66, v44, v66 row_newbcast:2 row_mask:0xf bank_mask:0xf// 0000000045D0: 0A8484FA FF01522C
	v_mul_f32_dpp v67, v44, v67 row_newbcast:3 row_mask:0xf bank_mask:0xf// 0000000045D8: 0A8686FA FF01532C
	v_mul_f32_e32 v68, v14, v68                                // 0000000045E0: 0A88890E
	v_mul_f32_e32 v68, v18, v68                                // 0000000045E4: 0A888912
	v_mul_f32_e32 v69, v14, v69                                // 0000000045E8: 0A8A8B0E
	v_mul_f32_e32 v69, v18, v69                                // 0000000045EC: 0A8A8B12
	v_mul_f32_e32 v70, v14, v70                                // 0000000045F0: 0A8C8D0E
	v_mul_f32_e32 v70, v18, v70                                // 0000000045F4: 0A8C8D12
	v_mul_f32_e32 v71, v14, v71                                // 0000000045F8: 0A8E8F0E
	v_mul_f32_e32 v71, v18, v71                                // 0000000045FC: 0A8E8F12
	v_mul_f32_dpp v68, v44, v68 row_newbcast:0 row_mask:0xf bank_mask:0xf// 000000004600: 0A8888FA FF01502C
	v_mul_f32_dpp v69, v44, v69 row_newbcast:1 row_mask:0xf bank_mask:0xf// 000000004608: 0A8A8AFA FF01512C
	v_mul_f32_dpp v70, v44, v70 row_newbcast:2 row_mask:0xf bank_mask:0xf// 000000004610: 0A8C8CFA FF01522C
	v_mul_f32_dpp v71, v44, v71 row_newbcast:3 row_mask:0xf bank_mask:0xf// 000000004618: 0A8E8EFA FF01532C
	v_mul_f32_e32 v72, v13, v72                                // 000000004620: 0A90910D
	v_mul_f32_e32 v72, v17, v72                                // 000000004624: 0A909111
	v_mul_f32_e32 v73, v13, v73                                // 000000004628: 0A92930D
	v_mul_f32_e32 v73, v17, v73                                // 00000000462C: 0A929311
	v_mul_f32_e32 v74, v13, v74                                // 000000004630: 0A94950D
	v_mul_f32_e32 v74, v17, v74                                // 000000004634: 0A949511
	v_mul_f32_e32 v75, v13, v75                                // 000000004638: 0A96970D
	v_mul_f32_e32 v75, v17, v75                                // 00000000463C: 0A969711
	v_mul_f32_dpp v72, v44, v72 row_newbcast:4 row_mask:0xf bank_mask:0xf// 000000004640: 0A9090FA FF01542C
	v_mul_f32_dpp v73, v44, v73 row_newbcast:5 row_mask:0xf bank_mask:0xf// 000000004648: 0A9292FA FF01552C
	v_mul_f32_dpp v74, v44, v74 row_newbcast:6 row_mask:0xf bank_mask:0xf// 000000004650: 0A9494FA FF01562C
	v_mul_f32_dpp v75, v44, v75 row_newbcast:7 row_mask:0xf bank_mask:0xf// 000000004658: 0A9696FA FF01572C
	v_mul_f32_e32 v76, v14, v76                                // 000000004660: 0A98990E
	v_mul_f32_e32 v76, v18, v76                                // 000000004664: 0A989912
	v_mul_f32_e32 v77, v14, v77                                // 000000004668: 0A9A9B0E
	v_mul_f32_e32 v77, v18, v77                                // 00000000466C: 0A9A9B12
	v_mul_f32_e32 v78, v14, v78                                // 000000004670: 0A9C9D0E
	v_mul_f32_e32 v78, v18, v78                                // 000000004674: 0A9C9D12
	v_mul_f32_e32 v79, v14, v79                                // 000000004678: 0A9E9F0E
	v_mul_f32_e32 v79, v18, v79                                // 00000000467C: 0A9E9F12
	v_mul_f32_dpp v76, v44, v76 row_newbcast:4 row_mask:0xf bank_mask:0xf// 000000004680: 0A9898FA FF01542C
	v_mul_f32_dpp v77, v44, v77 row_newbcast:5 row_mask:0xf bank_mask:0xf// 000000004688: 0A9A9AFA FF01552C
	v_mul_f32_dpp v78, v44, v78 row_newbcast:6 row_mask:0xf bank_mask:0xf// 000000004690: 0A9C9CFA FF01562C
	v_mul_f32_dpp v79, v44, v79 row_newbcast:7 row_mask:0xf bank_mask:0xf// 000000004698: 0A9E9EFA FF01572C
	v_mul_f32_e32 v80, v13, v80                                // 0000000046A0: 0AA0A10D
	v_mul_f32_e32 v80, v17, v80                                // 0000000046A4: 0AA0A111
	v_mul_f32_e32 v81, v13, v81                                // 0000000046A8: 0AA2A30D
	v_mul_f32_e32 v81, v17, v81                                // 0000000046AC: 0AA2A311
	v_mul_f32_e32 v82, v13, v82                                // 0000000046B0: 0AA4A50D
	v_mul_f32_e32 v82, v17, v82                                // 0000000046B4: 0AA4A511
	v_mul_f32_e32 v83, v13, v83                                // 0000000046B8: 0AA6A70D
	v_mul_f32_e32 v83, v17, v83                                // 0000000046BC: 0AA6A711
	v_mul_f32_dpp v80, v44, v80 row_newbcast:8 row_mask:0xf bank_mask:0xf// 0000000046C0: 0AA0A0FA FF01582C
	v_mul_f32_dpp v81, v44, v81 row_newbcast:9 row_mask:0xf bank_mask:0xf// 0000000046C8: 0AA2A2FA FF01592C
	v_mul_f32_dpp v82, v44, v82 row_newbcast:10 row_mask:0xf bank_mask:0xf// 0000000046D0: 0AA4A4FA FF015A2C
	v_mul_f32_dpp v83, v44, v83 row_newbcast:11 row_mask:0xf bank_mask:0xf// 0000000046D8: 0AA6A6FA FF015B2C
	v_mul_f32_e32 v84, v14, v84                                // 0000000046E0: 0AA8A90E
	v_mul_f32_e32 v84, v18, v84                                // 0000000046E4: 0AA8A912
	v_mul_f32_e32 v85, v14, v85                                // 0000000046E8: 0AAAAB0E
	v_mul_f32_e32 v85, v18, v85                                // 0000000046EC: 0AAAAB12
	v_mul_f32_e32 v86, v14, v86                                // 0000000046F0: 0AACAD0E
	v_mul_f32_e32 v86, v18, v86                                // 0000000046F4: 0AACAD12
	v_mul_f32_e32 v87, v14, v87                                // 0000000046F8: 0AAEAF0E
	v_mul_f32_e32 v87, v18, v87                                // 0000000046FC: 0AAEAF12
	v_mul_f32_dpp v84, v44, v84 row_newbcast:8 row_mask:0xf bank_mask:0xf// 000000004700: 0AA8A8FA FF01582C
	v_mul_f32_dpp v85, v44, v85 row_newbcast:9 row_mask:0xf bank_mask:0xf// 000000004708: 0AAAAAFA FF01592C
	v_mul_f32_dpp v86, v44, v86 row_newbcast:10 row_mask:0xf bank_mask:0xf// 000000004710: 0AACACFA FF015A2C
	v_mul_f32_dpp v87, v44, v87 row_newbcast:11 row_mask:0xf bank_mask:0xf// 000000004718: 0AAEAEFA FF015B2C
	v_mul_f32_e32 v88, v13, v88                                // 000000004720: 0AB0B10D
	v_mul_f32_e32 v88, v17, v88                                // 000000004724: 0AB0B111
	v_mul_f32_e32 v89, v13, v89                                // 000000004728: 0AB2B30D
	v_mul_f32_e32 v89, v17, v89                                // 00000000472C: 0AB2B311
	v_mul_f32_e32 v90, v13, v90                                // 000000004730: 0AB4B50D
	v_mul_f32_e32 v90, v17, v90                                // 000000004734: 0AB4B511
	v_mul_f32_e32 v91, v13, v91                                // 000000004738: 0AB6B70D
	v_mul_f32_e32 v91, v17, v91                                // 00000000473C: 0AB6B711
	v_mul_f32_dpp v88, v44, v88 row_newbcast:12 row_mask:0xf bank_mask:0xf// 000000004740: 0AB0B0FA FF015C2C
	v_mul_f32_dpp v89, v44, v89 row_newbcast:13 row_mask:0xf bank_mask:0xf// 000000004748: 0AB2B2FA FF015D2C
	v_mul_f32_dpp v90, v44, v90 row_newbcast:14 row_mask:0xf bank_mask:0xf// 000000004750: 0AB4B4FA FF015E2C
	v_mul_f32_dpp v91, v44, v91 row_newbcast:15 row_mask:0xf bank_mask:0xf// 000000004758: 0AB6B6FA FF015F2C
	v_mul_f32_e32 v92, v14, v92                                // 000000004760: 0AB8B90E
	v_mul_f32_e32 v92, v18, v92                                // 000000004764: 0AB8B912
	v_mul_f32_e32 v93, v14, v93                                // 000000004768: 0ABABB0E
	v_mul_f32_e32 v93, v18, v93                                // 00000000476C: 0ABABB12
	v_mul_f32_e32 v94, v14, v94                                // 000000004770: 0ABCBD0E
	v_mul_f32_e32 v94, v18, v94                                // 000000004774: 0ABCBD12
	v_mul_f32_e32 v95, v14, v95                                // 000000004778: 0ABEBF0E
	v_mul_f32_e32 v95, v18, v95                                // 00000000477C: 0ABEBF12
	v_mul_f32_dpp v92, v44, v92 row_newbcast:12 row_mask:0xf bank_mask:0xf// 000000004780: 0AB8B8FA FF015C2C
	v_mul_f32_dpp v93, v44, v93 row_newbcast:13 row_mask:0xf bank_mask:0xf// 000000004788: 0ABABAFA FF015D2C
	v_mul_f32_dpp v94, v44, v94 row_newbcast:14 row_mask:0xf bank_mask:0xf// 000000004790: 0ABCBCFA FF015E2C
	v_mul_f32_dpp v95, v44, v95 row_newbcast:15 row_mask:0xf bank_mask:0xf// 000000004798: 0ABEBEFA FF015F2C
	s_waitcnt vmcnt(12)                                        // 0000000047A0: BF8C0F7C
	buffer_load_dwordx4 a[0:3], v36, s[12:15], 0 offen         // 0000000047A4: E05C1000 80830024
	v_mul_f32_e32 v46, v128, v128                              // 0000000047AC: 0A5D0180
	v_mul_f32_e32 v47, v129, v129                              // 0000000047B0: 0A5F0381
	v_mul_f32_e32 v48, v130, v130                              // 0000000047B4: 0A610582
	v_mul_f32_e32 v49, v131, v131                              // 0000000047B8: 0A630783
	v_fma_f32 v46, v46, s77, v1                                // 0000000047BC: D1CB002E 04049B2E
	v_fma_f32 v47, v47, s77, v1                                // 0000000047C4: D1CB002F 04049B2F
	v_fma_f32 v48, v48, s77, v1                                // 0000000047CC: D1CB0030 04049B30
	v_fma_f32 v49, v49, s77, v1                                // 0000000047D4: D1CB0031 04049B31
	v_mul_f32_e32 v46, v46, v128                               // 0000000047DC: 0A5D012E
	v_mul_f32_e32 v47, v47, v129                               // 0000000047E0: 0A5F032F
	v_mul_f32_e32 v48, v48, v130                               // 0000000047E4: 0A610530
	v_mul_f32_e32 v49, v49, v131                               // 0000000047E8: 0A630731
	v_mul_f32_e64 v46, v46, s6                                 // 0000000047EC: D105002E 00000D2E
	v_mul_f32_e64 v47, v47, s6                                 // 0000000047F4: D105002F 00000D2F
	v_mul_f32_e64 v48, v48, s6                                 // 0000000047FC: D1050030 00000D30
	v_mul_f32_e64 v49, v49, s6                                 // 000000004804: D1050031 00000D31
	v_exp_f32_e32 v46, v46                                     // 00000000480C: 7E5C412E
	v_exp_f32_e32 v47, v47                                     // 000000004810: 7E5E412F
	v_exp_f32_e32 v48, v48                                     // 000000004814: 7E604130
	v_exp_f32_e32 v49, v49                                     // 000000004818: 7E624131
	buffer_load_dwordx4 a[4:7], v37, s[12:15], 0 offen         // 00000000481C: E05C1000 80830425
	v_add_f32_e64 v46, v46, 1.0                                // 000000004824: D101002E 0001E52E
	v_add_f32_e64 v47, v47, 1.0                                // 00000000482C: D101002F 0001E52F
	v_add_f32_e64 v48, v48, 1.0                                // 000000004834: D1010030 0001E530
	v_add_f32_e64 v49, v49, 1.0                                // 00000000483C: D1010031 0001E531
	v_rcp_f32_e32 v46, v46                                     // 000000004844: 7E5C452E
	v_rcp_f32_e32 v47, v47                                     // 000000004848: 7E5E452F
	v_rcp_f32_e32 v48, v48                                     // 00000000484C: 7E604530
	v_rcp_f32_e32 v49, v49                                     // 000000004850: 7E624531
	v_mul_f32_e32 v128, v128, v46                              // 000000004854: 0B005D80
	v_mul_f32_e32 v129, v129, v47                              // 000000004858: 0B025F81
	v_mul_f32_e32 v130, v130, v48                              // 00000000485C: 0B046182
	v_mul_f32_e32 v131, v131, v49                              // 000000004860: 0B066383
	v_mul_f32_e32 v128, v128, v64                              // 000000004864: 0B008180
	v_mul_f32_e32 v129, v129, v65                              // 000000004868: 0B028381
	v_mul_f32_e32 v130, v130, v66                              // 00000000486C: 0B048582
	v_mul_f32_e32 v131, v131, v67                              // 000000004870: 0B068783
	buffer_load_dwordx4 a[8:11], v38, s[12:15], 0 offen        // 000000004874: E05C1000 80830826
	v_mul_f32_e32 v46, v132, v132                              // 00000000487C: 0A5D0984
	v_mul_f32_e32 v47, v133, v133                              // 000000004880: 0A5F0B85
	v_mul_f32_e32 v48, v134, v134                              // 000000004884: 0A610D86
	v_mul_f32_e32 v49, v135, v135                              // 000000004888: 0A630F87
	v_fma_f32 v46, v46, s77, v1                                // 00000000488C: D1CB002E 04049B2E
	v_fma_f32 v47, v47, s77, v1                                // 000000004894: D1CB002F 04049B2F
	v_fma_f32 v48, v48, s77, v1                                // 00000000489C: D1CB0030 04049B30
	v_fma_f32 v49, v49, s77, v1                                // 0000000048A4: D1CB0031 04049B31
	v_mul_f32_e32 v46, v46, v132                               // 0000000048AC: 0A5D092E
	v_mul_f32_e32 v47, v47, v133                               // 0000000048B0: 0A5F0B2F
	v_mul_f32_e32 v48, v48, v134                               // 0000000048B4: 0A610D30
	v_mul_f32_e32 v49, v49, v135                               // 0000000048B8: 0A630F31
	v_mul_f32_e64 v46, v46, s6                                 // 0000000048BC: D105002E 00000D2E
	v_mul_f32_e64 v47, v47, s6                                 // 0000000048C4: D105002F 00000D2F
	v_mul_f32_e64 v48, v48, s6                                 // 0000000048CC: D1050030 00000D30
	v_mul_f32_e64 v49, v49, s6                                 // 0000000048D4: D1050031 00000D31
	v_exp_f32_e32 v46, v46                                     // 0000000048DC: 7E5C412E
	v_exp_f32_e32 v47, v47                                     // 0000000048E0: 7E5E412F
	v_exp_f32_e32 v48, v48                                     // 0000000048E4: 7E604130
	v_exp_f32_e32 v49, v49                                     // 0000000048E8: 7E624131
	buffer_load_dwordx4 a[12:15], v39, s[12:15], 0 offen       // 0000000048EC: E05C1000 80830C27
	s_add_u32 s12, s78, s12                                    // 0000000048F4: 800C0C4E
	s_addc_u32 s13, 0, s13                                     // 0000000048F8: 820D0D80
	v_add_f32_e64 v46, v46, 1.0                                // 0000000048FC: D101002E 0001E52E
	v_add_f32_e64 v47, v47, 1.0                                // 000000004904: D101002F 0001E52F
	v_add_f32_e64 v48, v48, 1.0                                // 00000000490C: D1010030 0001E530
	v_add_f32_e64 v49, v49, 1.0                                // 000000004914: D1010031 0001E531
	v_rcp_f32_e32 v46, v46                                     // 00000000491C: 7E5C452E
	v_rcp_f32_e32 v47, v47                                     // 000000004920: 7E5E452F
	v_rcp_f32_e32 v48, v48                                     // 000000004924: 7E604530
	v_rcp_f32_e32 v49, v49                                     // 000000004928: 7E624531
	v_mul_f32_e32 v132, v132, v46                              // 00000000492C: 0B085D84
	v_mul_f32_e32 v133, v133, v47                              // 000000004930: 0B0A5F85
	v_mul_f32_e32 v134, v134, v48                              // 000000004934: 0B0C6186
	v_mul_f32_e32 v135, v135, v49                              // 000000004938: 0B0E6387
	v_mul_f32_e32 v132, v132, v68                              // 00000000493C: 0B088984
	v_mul_f32_e32 v133, v133, v69                              // 000000004940: 0B0A8B85
	v_mul_f32_e32 v134, v134, v70                              // 000000004944: 0B0C8D86
	v_mul_f32_e32 v135, v135, v71                              // 000000004948: 0B0E8F87
	s_waitcnt vmcnt(12)                                        // 00000000494C: BF8C0F7C
	buffer_load_dwordx4 a[16:19], v36, s[12:15], 0 offen       // 000000004950: E05C1000 80831024
	v_mul_f32_e32 v46, v136, v136                              // 000000004958: 0A5D1188
	v_mul_f32_e32 v47, v137, v137                              // 00000000495C: 0A5F1389
	v_mul_f32_e32 v48, v138, v138                              // 000000004960: 0A61158A
	v_mul_f32_e32 v49, v139, v139                              // 000000004964: 0A63178B
	v_fma_f32 v46, v46, s77, v1                                // 000000004968: D1CB002E 04049B2E
	v_fma_f32 v47, v47, s77, v1                                // 000000004970: D1CB002F 04049B2F
	v_fma_f32 v48, v48, s77, v1                                // 000000004978: D1CB0030 04049B30
	v_fma_f32 v49, v49, s77, v1                                // 000000004980: D1CB0031 04049B31
	v_mul_f32_e32 v46, v46, v136                               // 000000004988: 0A5D112E
	v_mul_f32_e32 v47, v47, v137                               // 00000000498C: 0A5F132F
	v_mul_f32_e32 v48, v48, v138                               // 000000004990: 0A611530
	v_mul_f32_e32 v49, v49, v139                               // 000000004994: 0A631731
	v_mul_f32_e64 v46, v46, s6                                 // 000000004998: D105002E 00000D2E
	v_mul_f32_e64 v47, v47, s6                                 // 0000000049A0: D105002F 00000D2F
	v_mul_f32_e64 v48, v48, s6                                 // 0000000049A8: D1050030 00000D30
	v_mul_f32_e64 v49, v49, s6                                 // 0000000049B0: D1050031 00000D31
	v_exp_f32_e32 v46, v46                                     // 0000000049B8: 7E5C412E
	v_exp_f32_e32 v47, v47                                     // 0000000049BC: 7E5E412F
	v_exp_f32_e32 v48, v48                                     // 0000000049C0: 7E604130
	v_exp_f32_e32 v49, v49                                     // 0000000049C4: 7E624131
	buffer_load_dwordx4 a[20:23], v37, s[12:15], 0 offen       // 0000000049C8: E05C1000 80831425
	v_add_f32_e64 v46, v46, 1.0                                // 0000000049D0: D101002E 0001E52E
	v_add_f32_e64 v47, v47, 1.0                                // 0000000049D8: D101002F 0001E52F
	v_add_f32_e64 v48, v48, 1.0                                // 0000000049E0: D1010030 0001E530
	v_add_f32_e64 v49, v49, 1.0                                // 0000000049E8: D1010031 0001E531
	v_rcp_f32_e32 v46, v46                                     // 0000000049F0: 7E5C452E
	v_rcp_f32_e32 v47, v47                                     // 0000000049F4: 7E5E452F
	v_rcp_f32_e32 v48, v48                                     // 0000000049F8: 7E604530
	v_rcp_f32_e32 v49, v49                                     // 0000000049FC: 7E624531
	v_mul_f32_e32 v136, v136, v46                              // 000000004A00: 0B105D88
	v_mul_f32_e32 v137, v137, v47                              // 000000004A04: 0B125F89
	v_mul_f32_e32 v138, v138, v48                              // 000000004A08: 0B14618A
	v_mul_f32_e32 v139, v139, v49                              // 000000004A0C: 0B16638B
	v_mul_f32_e32 v136, v136, v72                              // 000000004A10: 0B109188
	v_mul_f32_e32 v137, v137, v73                              // 000000004A14: 0B129389
	v_mul_f32_e32 v138, v138, v74                              // 000000004A18: 0B14958A
	v_mul_f32_e32 v139, v139, v75                              // 000000004A1C: 0B16978B
	buffer_load_dwordx4 a[24:27], v38, s[12:15], 0 offen       // 000000004A20: E05C1000 80831826
	v_mul_f32_e32 v46, v140, v140                              // 000000004A28: 0A5D198C
	v_mul_f32_e32 v47, v141, v141                              // 000000004A2C: 0A5F1B8D
	v_mul_f32_e32 v48, v142, v142                              // 000000004A30: 0A611D8E
	v_mul_f32_e32 v49, v143, v143                              // 000000004A34: 0A631F8F
	v_fma_f32 v46, v46, s77, v1                                // 000000004A38: D1CB002E 04049B2E
	v_fma_f32 v47, v47, s77, v1                                // 000000004A40: D1CB002F 04049B2F
	v_fma_f32 v48, v48, s77, v1                                // 000000004A48: D1CB0030 04049B30
	v_fma_f32 v49, v49, s77, v1                                // 000000004A50: D1CB0031 04049B31
	v_mul_f32_e32 v46, v46, v140                               // 000000004A58: 0A5D192E
	v_mul_f32_e32 v47, v47, v141                               // 000000004A5C: 0A5F1B2F
	v_mul_f32_e32 v48, v48, v142                               // 000000004A60: 0A611D30
	v_mul_f32_e32 v49, v49, v143                               // 000000004A64: 0A631F31
	v_mul_f32_e64 v46, v46, s6                                 // 000000004A68: D105002E 00000D2E
	v_mul_f32_e64 v47, v47, s6                                 // 000000004A70: D105002F 00000D2F
	v_mul_f32_e64 v48, v48, s6                                 // 000000004A78: D1050030 00000D30
	v_mul_f32_e64 v49, v49, s6                                 // 000000004A80: D1050031 00000D31
	v_exp_f32_e32 v46, v46                                     // 000000004A88: 7E5C412E
	v_exp_f32_e32 v47, v47                                     // 000000004A8C: 7E5E412F
	v_exp_f32_e32 v48, v48                                     // 000000004A90: 7E604130
	v_exp_f32_e32 v49, v49                                     // 000000004A94: 7E624131
	buffer_load_dwordx4 a[28:31], v39, s[12:15], 0 offen       // 000000004A98: E05C1000 80831C27
	s_add_u32 s12, s78, s12                                    // 000000004AA0: 800C0C4E
	s_addc_u32 s13, 0, s13                                     // 000000004AA4: 820D0D80
	v_add_f32_e64 v46, v46, 1.0                                // 000000004AA8: D101002E 0001E52E
	v_add_f32_e64 v47, v47, 1.0                                // 000000004AB0: D101002F 0001E52F
	v_add_f32_e64 v48, v48, 1.0                                // 000000004AB8: D1010030 0001E530
	v_add_f32_e64 v49, v49, 1.0                                // 000000004AC0: D1010031 0001E531
	v_rcp_f32_e32 v46, v46                                     // 000000004AC8: 7E5C452E
	v_rcp_f32_e32 v47, v47                                     // 000000004ACC: 7E5E452F
	v_rcp_f32_e32 v48, v48                                     // 000000004AD0: 7E604530
	v_rcp_f32_e32 v49, v49                                     // 000000004AD4: 7E624531
	v_mul_f32_e32 v140, v140, v46                              // 000000004AD8: 0B185D8C
	v_mul_f32_e32 v141, v141, v47                              // 000000004ADC: 0B1A5F8D
	v_mul_f32_e32 v142, v142, v48                              // 000000004AE0: 0B1C618E
	v_mul_f32_e32 v143, v143, v49                              // 000000004AE4: 0B1E638F
	v_mul_f32_e32 v140, v140, v76                              // 000000004AE8: 0B18998C
	v_mul_f32_e32 v141, v141, v77                              // 000000004AEC: 0B1A9B8D
	v_mul_f32_e32 v142, v142, v78                              // 000000004AF0: 0B1C9D8E
	v_mul_f32_e32 v143, v143, v79                              // 000000004AF4: 0B1E9F8F
	s_waitcnt vmcnt(12)                                        // 000000004AF8: BF8C0F7C
	buffer_load_dwordx4 a[32:35], v36, s[12:15], 0 offen       // 000000004AFC: E05C1000 80832024
	v_mul_f32_e32 v46, v144, v144                              // 000000004B04: 0A5D2190
	v_mul_f32_e32 v47, v145, v145                              // 000000004B08: 0A5F2391
	v_mul_f32_e32 v48, v146, v146                              // 000000004B0C: 0A612592
	v_mul_f32_e32 v49, v147, v147                              // 000000004B10: 0A632793
	v_fma_f32 v46, v46, s77, v1                                // 000000004B14: D1CB002E 04049B2E
	v_fma_f32 v47, v47, s77, v1                                // 000000004B1C: D1CB002F 04049B2F
	v_fma_f32 v48, v48, s77, v1                                // 000000004B24: D1CB0030 04049B30
	v_fma_f32 v49, v49, s77, v1                                // 000000004B2C: D1CB0031 04049B31
	v_mul_f32_e32 v46, v46, v144                               // 000000004B34: 0A5D212E
	v_mul_f32_e32 v47, v47, v145                               // 000000004B38: 0A5F232F
	v_mul_f32_e32 v48, v48, v146                               // 000000004B3C: 0A612530
	v_mul_f32_e32 v49, v49, v147                               // 000000004B40: 0A632731
	v_mul_f32_e64 v46, v46, s6                                 // 000000004B44: D105002E 00000D2E
	v_mul_f32_e64 v47, v47, s6                                 // 000000004B4C: D105002F 00000D2F
	v_mul_f32_e64 v48, v48, s6                                 // 000000004B54: D1050030 00000D30
	v_mul_f32_e64 v49, v49, s6                                 // 000000004B5C: D1050031 00000D31
	v_exp_f32_e32 v46, v46                                     // 000000004B64: 7E5C412E
	v_exp_f32_e32 v47, v47                                     // 000000004B68: 7E5E412F
	v_exp_f32_e32 v48, v48                                     // 000000004B6C: 7E604130
	v_exp_f32_e32 v49, v49                                     // 000000004B70: 7E624131
	buffer_load_dwordx4 a[36:39], v37, s[12:15], 0 offen       // 000000004B74: E05C1000 80832425
	v_add_f32_e64 v46, v46, 1.0                                // 000000004B7C: D101002E 0001E52E
	v_add_f32_e64 v47, v47, 1.0                                // 000000004B84: D101002F 0001E52F
	v_add_f32_e64 v48, v48, 1.0                                // 000000004B8C: D1010030 0001E530
	v_add_f32_e64 v49, v49, 1.0                                // 000000004B94: D1010031 0001E531
	v_rcp_f32_e32 v46, v46                                     // 000000004B9C: 7E5C452E
	v_rcp_f32_e32 v47, v47                                     // 000000004BA0: 7E5E452F
	v_rcp_f32_e32 v48, v48                                     // 000000004BA4: 7E604530
	v_rcp_f32_e32 v49, v49                                     // 000000004BA8: 7E624531
	v_mul_f32_e32 v144, v144, v46                              // 000000004BAC: 0B205D90
	v_mul_f32_e32 v145, v145, v47                              // 000000004BB0: 0B225F91
	v_mul_f32_e32 v146, v146, v48                              // 000000004BB4: 0B246192
	v_mul_f32_e32 v147, v147, v49                              // 000000004BB8: 0B266393
	v_mul_f32_e32 v144, v144, v80                              // 000000004BBC: 0B20A190
	v_mul_f32_e32 v145, v145, v81                              // 000000004BC0: 0B22A391
	v_mul_f32_e32 v146, v146, v82                              // 000000004BC4: 0B24A592
	v_mul_f32_e32 v147, v147, v83                              // 000000004BC8: 0B26A793
	buffer_load_dwordx4 a[40:43], v38, s[12:15], 0 offen       // 000000004BCC: E05C1000 80832826
	v_mul_f32_e32 v46, v148, v148                              // 000000004BD4: 0A5D2994
	v_mul_f32_e32 v47, v149, v149                              // 000000004BD8: 0A5F2B95
	v_mul_f32_e32 v48, v150, v150                              // 000000004BDC: 0A612D96
	v_mul_f32_e32 v49, v151, v151                              // 000000004BE0: 0A632F97
	v_fma_f32 v46, v46, s77, v1                                // 000000004BE4: D1CB002E 04049B2E
	v_fma_f32 v47, v47, s77, v1                                // 000000004BEC: D1CB002F 04049B2F
	v_fma_f32 v48, v48, s77, v1                                // 000000004BF4: D1CB0030 04049B30
	v_fma_f32 v49, v49, s77, v1                                // 000000004BFC: D1CB0031 04049B31
	v_mul_f32_e32 v46, v46, v148                               // 000000004C04: 0A5D292E
	v_mul_f32_e32 v47, v47, v149                               // 000000004C08: 0A5F2B2F
	v_mul_f32_e32 v48, v48, v150                               // 000000004C0C: 0A612D30
	v_mul_f32_e32 v49, v49, v151                               // 000000004C10: 0A632F31
	v_mul_f32_e64 v46, v46, s6                                 // 000000004C14: D105002E 00000D2E
	v_mul_f32_e64 v47, v47, s6                                 // 000000004C1C: D105002F 00000D2F
	v_mul_f32_e64 v48, v48, s6                                 // 000000004C24: D1050030 00000D30
	v_mul_f32_e64 v49, v49, s6                                 // 000000004C2C: D1050031 00000D31
	v_exp_f32_e32 v46, v46                                     // 000000004C34: 7E5C412E
	v_exp_f32_e32 v47, v47                                     // 000000004C38: 7E5E412F
	v_exp_f32_e32 v48, v48                                     // 000000004C3C: 7E604130
	v_exp_f32_e32 v49, v49                                     // 000000004C40: 7E624131
	buffer_load_dwordx4 a[44:47], v39, s[12:15], 0 offen       // 000000004C44: E05C1000 80832C27
	s_add_u32 s12, s78, s12                                    // 000000004C4C: 800C0C4E
	s_addc_u32 s13, 0, s13                                     // 000000004C50: 820D0D80
	v_add_f32_e64 v46, v46, 1.0                                // 000000004C54: D101002E 0001E52E
	v_add_f32_e64 v47, v47, 1.0                                // 000000004C5C: D101002F 0001E52F
	v_add_f32_e64 v48, v48, 1.0                                // 000000004C64: D1010030 0001E530
	v_add_f32_e64 v49, v49, 1.0                                // 000000004C6C: D1010031 0001E531
	v_rcp_f32_e32 v46, v46                                     // 000000004C74: 7E5C452E
	v_rcp_f32_e32 v47, v47                                     // 000000004C78: 7E5E452F
	v_rcp_f32_e32 v48, v48                                     // 000000004C7C: 7E604530
	v_rcp_f32_e32 v49, v49                                     // 000000004C80: 7E624531
	v_mul_f32_e32 v148, v148, v46                              // 000000004C84: 0B285D94
	v_mul_f32_e32 v149, v149, v47                              // 000000004C88: 0B2A5F95
	v_mul_f32_e32 v150, v150, v48                              // 000000004C8C: 0B2C6196
	v_mul_f32_e32 v151, v151, v49                              // 000000004C90: 0B2E6397
	v_mul_f32_e32 v148, v148, v84                              // 000000004C94: 0B28A994
	v_mul_f32_e32 v149, v149, v85                              // 000000004C98: 0B2AAB95
	v_mul_f32_e32 v150, v150, v86                              // 000000004C9C: 0B2CAD96
	v_mul_f32_e32 v151, v151, v87                              // 000000004CA0: 0B2EAF97
	s_waitcnt vmcnt(12)                                        // 000000004CA4: BF8C0F7C
	buffer_load_dwordx4 a[48:51], v36, s[12:15], 0 offen       // 000000004CA8: E05C1000 80833024
	v_mul_f32_e32 v46, v152, v152                              // 000000004CB0: 0A5D3198
	v_mul_f32_e32 v47, v153, v153                              // 000000004CB4: 0A5F3399
	v_mul_f32_e32 v48, v154, v154                              // 000000004CB8: 0A61359A
	v_mul_f32_e32 v49, v155, v155                              // 000000004CBC: 0A63379B
	v_fma_f32 v46, v46, s77, v1                                // 000000004CC0: D1CB002E 04049B2E
	v_fma_f32 v47, v47, s77, v1                                // 000000004CC8: D1CB002F 04049B2F
	v_fma_f32 v48, v48, s77, v1                                // 000000004CD0: D1CB0030 04049B30
	v_fma_f32 v49, v49, s77, v1                                // 000000004CD8: D1CB0031 04049B31
	v_mul_f32_e32 v46, v46, v152                               // 000000004CE0: 0A5D312E
	v_mul_f32_e32 v47, v47, v153                               // 000000004CE4: 0A5F332F
	v_mul_f32_e32 v48, v48, v154                               // 000000004CE8: 0A613530
	v_mul_f32_e32 v49, v49, v155                               // 000000004CEC: 0A633731
	v_mul_f32_e64 v46, v46, s6                                 // 000000004CF0: D105002E 00000D2E
	v_mul_f32_e64 v47, v47, s6                                 // 000000004CF8: D105002F 00000D2F
	v_mul_f32_e64 v48, v48, s6                                 // 000000004D00: D1050030 00000D30
	v_mul_f32_e64 v49, v49, s6                                 // 000000004D08: D1050031 00000D31
	v_exp_f32_e32 v46, v46                                     // 000000004D10: 7E5C412E
	v_exp_f32_e32 v47, v47                                     // 000000004D14: 7E5E412F
	v_exp_f32_e32 v48, v48                                     // 000000004D18: 7E604130
	v_exp_f32_e32 v49, v49                                     // 000000004D1C: 7E624131
	buffer_load_dwordx4 a[52:55], v37, s[12:15], 0 offen       // 000000004D20: E05C1000 80833425
	v_add_f32_e64 v46, v46, 1.0                                // 000000004D28: D101002E 0001E52E
	v_add_f32_e64 v47, v47, 1.0                                // 000000004D30: D101002F 0001E52F
	v_add_f32_e64 v48, v48, 1.0                                // 000000004D38: D1010030 0001E530
	v_add_f32_e64 v49, v49, 1.0                                // 000000004D40: D1010031 0001E531
	v_rcp_f32_e32 v46, v46                                     // 000000004D48: 7E5C452E
	v_rcp_f32_e32 v47, v47                                     // 000000004D4C: 7E5E452F
	v_rcp_f32_e32 v48, v48                                     // 000000004D50: 7E604530
	v_rcp_f32_e32 v49, v49                                     // 000000004D54: 7E624531
	v_mul_f32_e32 v152, v152, v46                              // 000000004D58: 0B305D98
	v_mul_f32_e32 v153, v153, v47                              // 000000004D5C: 0B325F99
	v_mul_f32_e32 v154, v154, v48                              // 000000004D60: 0B34619A
	v_mul_f32_e32 v155, v155, v49                              // 000000004D64: 0B36639B
	v_mul_f32_e32 v152, v152, v88                              // 000000004D68: 0B30B198
	v_mul_f32_e32 v153, v153, v89                              // 000000004D6C: 0B32B399
	v_mul_f32_e32 v154, v154, v90                              // 000000004D70: 0B34B59A
	v_mul_f32_e32 v155, v155, v91                              // 000000004D74: 0B36B79B
	buffer_load_dwordx4 a[56:59], v38, s[12:15], 0 offen       // 000000004D78: E05C1000 80833826
	v_mul_f32_e32 v46, v156, v156                              // 000000004D80: 0A5D399C
	v_mul_f32_e32 v47, v157, v157                              // 000000004D84: 0A5F3B9D
	v_mul_f32_e32 v48, v158, v158                              // 000000004D88: 0A613D9E
	v_mul_f32_e32 v49, v159, v159                              // 000000004D8C: 0A633F9F
	v_fma_f32 v46, v46, s77, v1                                // 000000004D90: D1CB002E 04049B2E
	v_fma_f32 v47, v47, s77, v1                                // 000000004D98: D1CB002F 04049B2F
	v_fma_f32 v48, v48, s77, v1                                // 000000004DA0: D1CB0030 04049B30
	v_fma_f32 v49, v49, s77, v1                                // 000000004DA8: D1CB0031 04049B31
	v_mul_f32_e32 v46, v46, v156                               // 000000004DB0: 0A5D392E
	v_mul_f32_e32 v47, v47, v157                               // 000000004DB4: 0A5F3B2F
	v_mul_f32_e32 v48, v48, v158                               // 000000004DB8: 0A613D30
	v_mul_f32_e32 v49, v49, v159                               // 000000004DBC: 0A633F31
	v_mul_f32_e64 v46, v46, s6                                 // 000000004DC0: D105002E 00000D2E
	v_mul_f32_e64 v47, v47, s6                                 // 000000004DC8: D105002F 00000D2F
	v_mul_f32_e64 v48, v48, s6                                 // 000000004DD0: D1050030 00000D30
	v_mul_f32_e64 v49, v49, s6                                 // 000000004DD8: D1050031 00000D31
	v_exp_f32_e32 v46, v46                                     // 000000004DE0: 7E5C412E
	v_exp_f32_e32 v47, v47                                     // 000000004DE4: 7E5E412F
	v_exp_f32_e32 v48, v48                                     // 000000004DE8: 7E604130
	v_exp_f32_e32 v49, v49                                     // 000000004DEC: 7E624131
	buffer_load_dwordx4 a[60:63], v39, s[12:15], 0 offen       // 000000004DF0: E05C1000 80833C27
	v_add_f32_e64 v46, v46, 1.0                                // 000000004DF8: D101002E 0001E52E
	v_add_f32_e64 v47, v47, 1.0                                // 000000004E00: D101002F 0001E52F
	v_add_f32_e64 v48, v48, 1.0                                // 000000004E08: D1010030 0001E530
	v_add_f32_e64 v49, v49, 1.0                                // 000000004E10: D1010031 0001E531
	v_rcp_f32_e32 v46, v46                                     // 000000004E18: 7E5C452E
	v_rcp_f32_e32 v47, v47                                     // 000000004E1C: 7E5E452F
	v_rcp_f32_e32 v48, v48                                     // 000000004E20: 7E604530
	v_rcp_f32_e32 v49, v49                                     // 000000004E24: 7E624531
	v_mul_f32_e32 v156, v156, v46                              // 000000004E28: 0B385D9C
	v_mul_f32_e32 v157, v157, v47                              // 000000004E2C: 0B3A5F9D
	v_mul_f32_e32 v158, v158, v48                              // 000000004E30: 0B3C619E
	v_mul_f32_e32 v159, v159, v49                              // 000000004E34: 0B3E639F
	v_mul_f32_e32 v156, v156, v92                              // 000000004E38: 0B38B99C
	v_mul_f32_e32 v157, v157, v93                              // 000000004E3C: 0B3ABB9D
	v_mul_f32_e32 v158, v158, v94                              // 000000004E40: 0B3CBD9E
	v_mul_f32_e32 v159, v159, v95                              // 000000004E44: 0B3EBF9F
	v_lshlrev_b32_e32 v46, 2, v0                               // 000000004E48: 245C0082
	s_mul_i32 s60, s82, s71                                    // 000000004E4C: 923C4752
	v_add_u32_e64 v80, v46, s60                                // 000000004E50: D1340050 0000792E
	v_mov_b32_e32 v81, 0                                       // 000000004E58: 7EA20280
	s_mul_i32 s60, s83, s71                                    // 000000004E5C: 923C4753
	v_add_u32_e64 v82, v46, s60                                // 000000004E60: D1340052 0000792E
	v_mov_b32_e32 v83, 0                                       // 000000004E68: 7EA60280
	s_mul_i32 s60, s84, s71                                    // 000000004E6C: 923C4754
	v_add_u32_e64 v84, v46, s60                                // 000000004E70: D1340054 0000792E
	v_mov_b32_e32 v85, 0                                       // 000000004E78: 7EAA0280
	s_mul_i32 s60, s85, s71                                    // 000000004E7C: 923C4755
	v_add_u32_e64 v86, v46, s60                                // 000000004E80: D1340056 0000792E
	v_mov_b32_e32 v87, 0                                       // 000000004E88: 7EAE0280
	s_mul_i32 s60, s86, s71                                    // 000000004E8C: 923C4756
	v_add_u32_e64 v88, v46, s60                                // 000000004E90: D1340058 0000792E
	v_mov_b32_e32 v89, 0                                       // 000000004E98: 7EB20280
	s_mul_i32 s60, s87, s71                                    // 000000004E9C: 923C4757
	v_add_u32_e64 v90, v46, s60                                // 000000004EA0: D134005A 0000792E
	v_mov_b32_e32 v91, 0                                       // 000000004EA8: 7EB60280
	s_mul_i32 s60, s88, s71                                    // 000000004EAC: 923C4758
	v_add_u32_e64 v92, v46, s60                                // 000000004EB0: D134005C 0000792E
	v_mov_b32_e32 v93, 0                                       // 000000004EB8: 7EBA0280
	s_mul_i32 s60, s89, s71                                    // 000000004EBC: 923C4759
	v_add_u32_e64 v94, v46, s60                                // 000000004EC0: D134005E 0000792E
	v_mov_b32_e32 v95, 0                                       // 000000004EC8: 7EBE0280
	buffer_load_dword v11, v5, s[16:19], 0 offen               // 000000004ECC: E0501000 80040B05
	v_mov_b32_e32 v20, 0x358637bd                              // 000000004ED4: 7E2802FF 358637BD
	v_mov_b32_e32 v21, 0x358637bd                              // 000000004EDC: 7E2A02FF 358637BD
	v_max3_f32 v20, |v128|, |v129|, v20                        // 000000004EE4: D1D30314 04530380
	v_max3_f32 v20, |v130|, |v131|, v20                        // 000000004EEC: D1D30314 04530782
	v_max3_f32 v21, |v132|, |v133|, v21                        // 000000004EF4: D1D30315 04570B84
	v_max3_f32 v21, |v134|, |v135|, v21                        // 000000004EFC: D1D30315 04570F86
	v_max3_f32 v20, |v136|, |v137|, v20                        // 000000004F04: D1D30314 04531388
	v_max3_f32 v20, |v138|, |v139|, v20                        // 000000004F0C: D1D30314 0453178A
	v_max3_f32 v21, |v140|, |v141|, v21                        // 000000004F14: D1D30315 04571B8C
	v_max3_f32 v21, |v142|, |v143|, v21                        // 000000004F1C: D1D30315 04571F8E
	v_max3_f32 v20, |v144|, |v145|, v20                        // 000000004F24: D1D30314 04532390
	v_max3_f32 v20, |v146|, |v147|, v20                        // 000000004F2C: D1D30314 04532792
	v_max3_f32 v21, |v148|, |v149|, v21                        // 000000004F34: D1D30315 04572B94
	v_max3_f32 v21, |v150|, |v151|, v21                        // 000000004F3C: D1D30315 04572F96
	v_max3_f32 v20, |v152|, |v153|, v20                        // 000000004F44: D1D30314 04533398
	v_max3_f32 v20, |v154|, |v155|, v20                        // 000000004F4C: D1D30314 0453379A
	v_max3_f32 v21, |v156|, |v157|, v21                        // 000000004F54: D1D30315 04573B9C
	v_max3_f32 v21, |v158|, |v159|, v21                        // 000000004F5C: D1D30315 04573F9E
	v_lshlrev_b32_e32 v46, 3, v0                               // 000000004F64: 245C0083
	s_mul_i32 s60, 0x200, s7                                   // 000000004F68: 923C07FF 00000200
	v_add_u32_e32 v46, s60, v46                                // 000000004F70: 685C5C3C
	ds_write_b64 v46, v[20:21] offset:16640                    // 000000004F74: D89A4100 0000142E
	s_waitcnt lgkmcnt(0)                                       // 000000004F7C: BF8CC07F
	s_barrier                                                  // 000000004F80: BF8A0000
	v_and_b32_e32 v46, 15, v0                                  // 000000004F84: 265C008F
	v_lshlrev_b32_e32 v46, 3, v46                              // 000000004F88: 245C5C83
	ds_read_b64 v[96:97], v46 offset:16640                     // 000000004F8C: D8EC4100 6000002E
	ds_read_b64 v[98:99], v46 offset:16768                     // 000000004F94: D8EC4180 6200002E
	ds_read_b64 v[100:101], v46 offset:16896                   // 000000004F9C: D8EC4200 6400002E
	ds_read_b64 v[102:103], v46 offset:17024                   // 000000004FA4: D8EC4280 6600002E
	ds_read_b64 v[104:105], v46 offset:17152                   // 000000004FAC: D8EC4300 6800002E
	ds_read_b64 v[106:107], v46 offset:17280                   // 000000004FB4: D8EC4380 6A00002E
	ds_read_b64 v[108:109], v46 offset:17408                   // 000000004FBC: D8EC4400 6C00002E
	ds_read_b64 v[110:111], v46 offset:17536                   // 000000004FC4: D8EC4480 6E00002E
	ds_read_b64 v[112:113], v46 offset:17664                   // 000000004FCC: D8EC4500 7000002E
	ds_read_b64 v[114:115], v46 offset:17792                   // 000000004FD4: D8EC4580 7200002E
	ds_read_b64 v[116:117], v46 offset:17920                   // 000000004FDC: D8EC4600 7400002E
	ds_read_b64 v[118:119], v46 offset:18048                   // 000000004FE4: D8EC4680 7600002E
	ds_read_b64 v[120:121], v46 offset:18176                   // 000000004FEC: D8EC4700 7800002E
	ds_read_b64 v[122:123], v46 offset:18304                   // 000000004FF4: D8EC4780 7A00002E
	ds_read_b64 v[124:125], v46 offset:18432                   // 000000004FFC: D8EC4800 7C00002E
	ds_read_b64 v[126:127], v46 offset:18560                   // 000000005004: D8EC4880 7E00002E
	s_waitcnt lgkmcnt(0)                                       // 00000000500C: BF8CC07F
	v_max3_f32 v20, |v96|, |v98|, v20                          // 000000005010: D1D30314 0452C560
	v_max3_f32 v21, |v97|, |v99|, v21                          // 000000005018: D1D30315 0456C761
	v_max3_f32 v20, |v100|, |v102|, v20                        // 000000005020: D1D30314 0452CD64
	v_max3_f32 v21, |v101|, |v103|, v21                        // 000000005028: D1D30315 0456CF65
	v_max3_f32 v20, |v104|, |v106|, v20                        // 000000005030: D1D30314 0452D568
	v_max3_f32 v21, |v105|, |v107|, v21                        // 000000005038: D1D30315 0456D769
	v_max3_f32 v20, |v108|, |v110|, v20                        // 000000005040: D1D30314 0452DD6C
	v_max3_f32 v21, |v109|, |v111|, v21                        // 000000005048: D1D30315 0456DF6D
	v_max3_f32 v20, |v112|, |v114|, v20                        // 000000005050: D1D30314 0452E570
	v_max3_f32 v21, |v113|, |v115|, v21                        // 000000005058: D1D30315 0456E771
	v_max3_f32 v20, |v116|, |v118|, v20                        // 000000005060: D1D30314 0452ED74
	v_max3_f32 v21, |v117|, |v119|, v21                        // 000000005068: D1D30315 0456EF75
	v_max3_f32 v20, |v120|, |v122|, v20                        // 000000005070: D1D30314 0452F578
	v_max3_f32 v21, |v121|, |v123|, v21                        // 000000005078: D1D30315 0456F779
	v_max3_f32 v20, |v124|, |v126|, v20                        // 000000005080: D1D30314 0452FD7C
	v_max3_f32 v21, |v125|, |v127|, v21                        // 000000005088: D1D30315 0456FF7D
	v_rcp_f32_e32 v20, v20                                     // 000000005090: 7E284514
	v_rcp_f32_e32 v21, v21                                     // 000000005094: 7E2A4515
	v_mov_b32_e32 v46, 0x43700000                              // 000000005098: 7E5C02FF 43700000
	v_mul_f32_e32 v20, v46, v20                                // 0000000050A0: 0A28292E
	v_mul_f32_e32 v21, v46, v21                                // 0000000050A4: 0A2A2B2E
	v_mul_f32_e32 v128, v20, v128                              // 0000000050A8: 0B010114
	v_mul_f32_e32 v129, v20, v129                              // 0000000050AC: 0B030314
	v_mul_f32_e32 v130, v20, v130                              // 0000000050B0: 0B050514
	v_mul_f32_e32 v131, v20, v131                              // 0000000050B4: 0B070714
	v_cvt_pk_fp8_f32 v128, v128, v129                          // 0000000050B8: D2A20080 00030380
	v_cvt_pk_fp8_f32 v128, v130, v131 op_sel:[0,0,1]           // 0000000050C0: D2A24080 00030782
	v_mul_f32_e32 v132, v21, v132                              // 0000000050C8: 0B090915
	v_mul_f32_e32 v133, v21, v133                              // 0000000050CC: 0B0B0B15
	v_mul_f32_e32 v134, v21, v134                              // 0000000050D0: 0B0D0D15
	v_mul_f32_e32 v135, v21, v135                              // 0000000050D4: 0B0F0F15
	v_cvt_pk_fp8_f32 v129, v132, v133                          // 0000000050D8: D2A20081 00030B84
	v_cvt_pk_fp8_f32 v129, v134, v135 op_sel:[0,0,1]           // 0000000050E0: D2A24081 00030F86
	v_mul_f32_e32 v136, v20, v136                              // 0000000050E8: 0B111114
	v_mul_f32_e32 v137, v20, v137                              // 0000000050EC: 0B131314
	v_mul_f32_e32 v138, v20, v138                              // 0000000050F0: 0B151514
	v_mul_f32_e32 v139, v20, v139                              // 0000000050F4: 0B171714
	v_cvt_pk_fp8_f32 v130, v136, v137                          // 0000000050F8: D2A20082 00031388
	v_cvt_pk_fp8_f32 v130, v138, v139 op_sel:[0,0,1]           // 000000005100: D2A24082 0003178A
	v_mul_f32_e32 v140, v21, v140                              // 000000005108: 0B191915
	v_mul_f32_e32 v141, v21, v141                              // 00000000510C: 0B1B1B15
	v_mul_f32_e32 v142, v21, v142                              // 000000005110: 0B1D1D15
	v_mul_f32_e32 v143, v21, v143                              // 000000005114: 0B1F1F15
	v_cvt_pk_fp8_f32 v131, v140, v141                          // 000000005118: D2A20083 00031B8C
	v_cvt_pk_fp8_f32 v131, v142, v143 op_sel:[0,0,1]           // 000000005120: D2A24083 00031F8E
	v_mul_f32_e32 v144, v20, v144                              // 000000005128: 0B212114
	v_mul_f32_e32 v145, v20, v145                              // 00000000512C: 0B232314
	v_mul_f32_e32 v146, v20, v146                              // 000000005130: 0B252514
	v_mul_f32_e32 v147, v20, v147                              // 000000005134: 0B272714
	v_cvt_pk_fp8_f32 v132, v144, v145                          // 000000005138: D2A20084 00032390
	v_cvt_pk_fp8_f32 v132, v146, v147 op_sel:[0,0,1]           // 000000005140: D2A24084 00032792
	v_mul_f32_e32 v148, v21, v148                              // 000000005148: 0B292915
	v_mul_f32_e32 v149, v21, v149                              // 00000000514C: 0B2B2B15
	v_mul_f32_e32 v150, v21, v150                              // 000000005150: 0B2D2D15
	v_mul_f32_e32 v151, v21, v151                              // 000000005154: 0B2F2F15
	v_cvt_pk_fp8_f32 v133, v148, v149                          // 000000005158: D2A20085 00032B94
	v_cvt_pk_fp8_f32 v133, v150, v151 op_sel:[0,0,1]           // 000000005160: D2A24085 00032F96
	v_mul_f32_e32 v152, v20, v152                              // 000000005168: 0B313114
	v_mul_f32_e32 v153, v20, v153                              // 00000000516C: 0B333314
	v_mul_f32_e32 v154, v20, v154                              // 000000005170: 0B353514
	v_mul_f32_e32 v155, v20, v155                              // 000000005174: 0B373714
	v_cvt_pk_fp8_f32 v134, v152, v153                          // 000000005178: D2A20086 00033398
	v_cvt_pk_fp8_f32 v134, v154, v155 op_sel:[0,0,1]           // 000000005180: D2A24086 0003379A
	v_mul_f32_e32 v156, v21, v156                              // 000000005188: 0B393915
	v_mul_f32_e32 v157, v21, v157                              // 00000000518C: 0B3B3B15
	v_mul_f32_e32 v158, v21, v158                              // 000000005190: 0B3D3D15
	v_mul_f32_e32 v159, v21, v159                              // 000000005194: 0B3F3F15
	v_cvt_pk_fp8_f32 v135, v156, v157                          // 000000005198: D2A20087 00033B9C
	v_cvt_pk_fp8_f32 v135, v158, v159 op_sel:[0,0,1]           // 0000000051A0: D2A24087 00033F9E
	v_rcp_f32_e32 v22, v20                                     // 0000000051A8: 7E2C4514
	v_rcp_f32_e32 v23, v21                                     // 0000000051AC: 7E2E4515
	v_lshrrev_b32_e32 v46, 5, v0                               // 0000000051B0: 205C0085
	v_lshlrev_b32_e32 v47, 5, v46                              // 0000000051B4: 245E5C85
	v_and_b32_e32 v46, 31, v0                                  // 0000000051B8: 265C009F
	v_lshrrev_b32_e32 v48, 4, v46                              // 0000000051BC: 20605C84
	v_add_u32_e32 v47, v48, v47                                // 0000000051C0: 685E5F30
	v_and_b32_e32 v46, 15, v0                                  // 0000000051C4: 265C008F
	v_lshlrev_b32_e32 v46, 1, v46                              // 0000000051C8: 245C5C81
	v_add_u32_e32 v47, v46, v47                                // 0000000051CC: 685E5F2E
	v_lshlrev_b32_e32 v46, 2, v47                              // 0000000051D0: 245C5E82
	s_mul_i32 s60, 0x100, s7                                   // 0000000051D4: 923C07FF 00000100
	v_add_u32_e64 v46, v46, s60                                // 0000000051DC: D134002E 0000792E
	ds_write_b32 v46, v128 offset:18688                        // 0000000051E4: D81A4900 0000802E
	ds_write_b32 v46, v129 offset:22784                        // 0000000051EC: D81A5900 0000812E
	ds_write_b32 v46, v130 offset:19712                        // 0000000051F4: D81A4D00 0000822E
	ds_write_b32 v46, v131 offset:23808                        // 0000000051FC: D81A5D00 0000832E
	ds_write_b32 v46, v132 offset:20736                        // 000000005204: D81A5100 0000842E
	ds_write_b32 v46, v133 offset:24832                        // 00000000520C: D81A6100 0000852E
	ds_write_b32 v46, v134 offset:21760                        // 000000005214: D81A5500 0000862E
	ds_write_b32 v46, v135 offset:25856                        // 00000000521C: D81A6500 0000872E
	s_waitcnt lgkmcnt(0)                                       // 000000005224: BF8CC07F
	s_barrier                                                  // 000000005228: BF8A0000
	v_lshrrev_b32_e32 v46, 4, v0                               // 00000000522C: 205C0084
	v_lshlrev_b32_e32 v47, 6, v46                              // 000000005230: 245E5C86
	v_and_b32_e32 v46, 15, v0                                  // 000000005234: 265C008F
	v_lshlrev_b32_e32 v46, 1, v46                              // 000000005238: 245C5C81
	v_add_u32_e32 v47, v46, v47                                // 00000000523C: 685E5F2E
	v_lshlrev_b32_e32 v46, 2, v47                              // 000000005240: 245C5E82
	ds_read_b64 v[128:129], v46 offset:18688                   // 000000005244: D8EC4900 8000002E
	ds_read_b64 v[130:131], v46 offset:18816                   // 00000000524C: D8EC4980 8200002E
	ds_read_b64 v[132:133], v46 offset:19712                   // 000000005254: D8EC4D00 8400002E
	ds_read_b64 v[134:135], v46 offset:19840                   // 00000000525C: D8EC4D80 8600002E
	ds_read_b64 v[136:137], v46 offset:20736                   // 000000005264: D8EC5100 8800002E
	ds_read_b64 v[138:139], v46 offset:20864                   // 00000000526C: D8EC5180 8A00002E
	ds_read_b64 v[140:141], v46 offset:21760                   // 000000005274: D8EC5500 8C00002E
	ds_read_b64 v[142:143], v46 offset:21888                   // 00000000527C: D8EC5580 8E00002E
	ds_read_b64 v[144:145], v46 offset:22784                   // 000000005284: D8EC5900 9000002E
	ds_read_b64 v[146:147], v46 offset:22912                   // 00000000528C: D8EC5980 9200002E
	ds_read_b64 v[148:149], v46 offset:23808                   // 000000005294: D8EC5D00 9400002E
	ds_read_b64 v[150:151], v46 offset:23936                   // 00000000529C: D8EC5D80 9600002E
	ds_read_b64 v[152:153], v46 offset:24832                   // 0000000052A4: D8EC6100 9800002E
	ds_read_b64 v[154:155], v46 offset:24960                   // 0000000052AC: D8EC6180 9A00002E
	ds_read_b64 v[156:157], v46 offset:25856                   // 0000000052B4: D8EC6500 9C00002E
	ds_read_b64 v[158:159], v46 offset:25984                   // 0000000052BC: D8EC6580 9E00002E
	s_add_u32 s12, s56, s12                                    // 0000000052C4: 800C0C38
	s_addc_u32 s13, 0, s13                                     // 0000000052C8: 820D0D80
	s_add_u32 s16, s79, s16                                    // 0000000052CC: 8010104F
	s_addc_u32 s17, 0, s17                                     // 0000000052D0: 82111180
	s_mov_b32 s80, 0                                           // 0000000052D4: BED00080
	s_waitcnt vmcnt(0) expcnt(0) lgkmcnt(0)                    // 0000000052D8: BF8C0000

00000000000052dc <label_0937>:
	s_waitcnt vmcnt(29)                                        // 0000000052DC: BF8C4F7D
	s_barrier                                                  // 0000000052E0: BF8A0000
	v_mfma_f32_16x16x32_fp8_fp8 v[160:163], a[0:1], v[128:129], 0// 0000000052E4: D3F300A0 0A030100
	v_mfma_f32_16x16x32_fp8_fp8 v[160:163], a[2:3], v[130:131], v[160:163]// 0000000052EC: D3F300A0 0E830502
	buffer_load_dwordx4 a[64:67], v36, s[12:15], 0 offen       // 0000000052F4: E05C1000 80834024
	v_mfma_f32_16x16x32_fp8_fp8 v[164:167], a[0:1], v[144:145], 0// 0000000052FC: D3F300A4 0A032100
	v_mfma_f32_16x16x32_fp8_fp8 v[164:167], a[2:3], v[146:147], v[164:167]// 000000005304: D3F300A4 0E932502
	v_mfma_f32_16x16x32_fp8_fp8 v[168:171], a[4:5], v[128:129], 0// 00000000530C: D3F300A8 0A030104
	v_mfma_f32_16x16x32_fp8_fp8 v[168:171], a[6:7], v[130:131], v[168:171]// 000000005314: D3F300A8 0EA30506
	buffer_load_dwordx4 a[68:71], v37, s[12:15], 0 offen       // 00000000531C: E05C1000 80834425
	v_mfma_f32_16x16x32_fp8_fp8 v[172:175], a[4:5], v[144:145], 0// 000000005324: D3F300AC 0A032104
	v_mfma_f32_16x16x32_fp8_fp8 v[172:175], a[6:7], v[146:147], v[172:175]// 00000000532C: D3F300AC 0EB32506
	v_mfma_f32_16x16x32_fp8_fp8 v[176:179], a[8:9], v[128:129], 0// 000000005334: D3F300B0 0A030108
	v_mfma_f32_16x16x32_fp8_fp8 v[176:179], a[10:11], v[130:131], v[176:179]// 00000000533C: D3F300B0 0EC3050A
	buffer_load_dwordx4 a[72:75], v38, s[12:15], 0 offen       // 000000005344: E05C1000 80834826
	v_mfma_f32_16x16x32_fp8_fp8 v[180:183], a[8:9], v[144:145], 0// 00000000534C: D3F300B4 0A032108
	v_mfma_f32_16x16x32_fp8_fp8 v[180:183], a[10:11], v[146:147], v[180:183]// 000000005354: D3F300B4 0ED3250A
	v_mfma_f32_16x16x32_fp8_fp8 v[184:187], a[12:13], v[128:129], 0// 00000000535C: D3F300B8 0A03010C
	v_mfma_f32_16x16x32_fp8_fp8 v[184:187], a[14:15], v[130:131], v[184:187]// 000000005364: D3F300B8 0EE3050E
	buffer_load_dwordx4 a[76:79], v39, s[12:15], 0 offen       // 00000000536C: E05C1000 80834C27
	s_add_u32 s12, s78, s12                                    // 000000005374: 800C0C4E
	s_addc_u32 s13, 0, s13                                     // 000000005378: 820D0D80
	v_mfma_f32_16x16x32_fp8_fp8 v[188:191], a[12:13], v[144:145], 0// 00000000537C: D3F300BC 0A03210C
	v_mfma_f32_16x16x32_fp8_fp8 v[188:191], a[14:15], v[146:147], v[188:191]// 000000005384: D3F300BC 0EF3250E
	s_waitcnt vmcnt(29)                                        // 00000000538C: BF8C4F7D
	v_mfma_f32_16x16x32_fp8_fp8 v[160:163], a[16:17], v[132:133], v[160:163]// 000000005390: D3F300A0 0E830910
	v_mfma_f32_16x16x32_fp8_fp8 v[160:163], a[18:19], v[134:135], v[160:163]// 000000005398: D3F300A0 0E830D12
	buffer_load_dwordx4 a[80:83], v36, s[12:15], 0 offen       // 0000000053A0: E05C1000 80835024
	v_mfma_f32_16x16x32_fp8_fp8 v[164:167], a[16:17], v[148:149], v[164:167]// 0000000053A8: D3F300A4 0E932910
	v_mfma_f32_16x16x32_fp8_fp8 v[164:167], a[18:19], v[150:151], v[164:167]// 0000000053B0: D3F300A4 0E932D12
	v_mfma_f32_16x16x32_fp8_fp8 v[168:171], a[20:21], v[132:133], v[168:171]// 0000000053B8: D3F300A8 0EA30914
	v_mfma_f32_16x16x32_fp8_fp8 v[168:171], a[22:23], v[134:135], v[168:171]// 0000000053C0: D3F300A8 0EA30D16
	buffer_load_dwordx4 a[84:87], v37, s[12:15], 0 offen       // 0000000053C8: E05C1000 80835425
	v_mfma_f32_16x16x32_fp8_fp8 v[172:175], a[20:21], v[148:149], v[172:175]// 0000000053D0: D3F300AC 0EB32914
	v_mfma_f32_16x16x32_fp8_fp8 v[172:175], a[22:23], v[150:151], v[172:175]// 0000000053D8: D3F300AC 0EB32D16
	v_mfma_f32_16x16x32_fp8_fp8 v[176:179], a[24:25], v[132:133], v[176:179]// 0000000053E0: D3F300B0 0EC30918
	v_mfma_f32_16x16x32_fp8_fp8 v[176:179], a[26:27], v[134:135], v[176:179]// 0000000053E8: D3F300B0 0EC30D1A
	buffer_load_dwordx4 a[88:91], v38, s[12:15], 0 offen       // 0000000053F0: E05C1000 80835826
	v_mfma_f32_16x16x32_fp8_fp8 v[180:183], a[24:25], v[148:149], v[180:183]// 0000000053F8: D3F300B4 0ED32918
	v_mfma_f32_16x16x32_fp8_fp8 v[180:183], a[26:27], v[150:151], v[180:183]// 000000005400: D3F300B4 0ED32D1A
	v_mfma_f32_16x16x32_fp8_fp8 v[184:187], a[28:29], v[132:133], v[184:187]// 000000005408: D3F300B8 0EE3091C
	v_mfma_f32_16x16x32_fp8_fp8 v[184:187], a[30:31], v[134:135], v[184:187]// 000000005410: D3F300B8 0EE30D1E
	buffer_load_dwordx4 a[92:95], v39, s[12:15], 0 offen       // 000000005418: E05C1000 80835C27
	s_add_u32 s12, s78, s12                                    // 000000005420: 800C0C4E
	s_addc_u32 s13, 0, s13                                     // 000000005424: 820D0D80
	v_mfma_f32_16x16x32_fp8_fp8 v[188:191], a[28:29], v[148:149], v[188:191]// 000000005428: D3F300BC 0EF3291C
	v_mfma_f32_16x16x32_fp8_fp8 v[188:191], a[30:31], v[150:151], v[188:191]// 000000005430: D3F300BC 0EF32D1E
	s_waitcnt vmcnt(29)                                        // 000000005438: BF8C4F7D
	v_mfma_f32_16x16x32_fp8_fp8 v[160:163], a[32:33], v[136:137], v[160:163]// 00000000543C: D3F300A0 0E831120
	v_mfma_f32_16x16x32_fp8_fp8 v[160:163], a[34:35], v[138:139], v[160:163]// 000000005444: D3F300A0 0E831522
	buffer_load_dwordx4 a[96:99], v36, s[12:15], 0 offen       // 00000000544C: E05C1000 80836024
	v_mfma_f32_16x16x32_fp8_fp8 v[164:167], a[32:33], v[152:153], v[164:167]// 000000005454: D3F300A4 0E933120
	v_mfma_f32_16x16x32_fp8_fp8 v[164:167], a[34:35], v[154:155], v[164:167]// 00000000545C: D3F300A4 0E933522
	v_mfma_f32_16x16x32_fp8_fp8 v[168:171], a[36:37], v[136:137], v[168:171]// 000000005464: D3F300A8 0EA31124
	v_mfma_f32_16x16x32_fp8_fp8 v[168:171], a[38:39], v[138:139], v[168:171]// 00000000546C: D3F300A8 0EA31526
	buffer_load_dwordx4 a[100:103], v37, s[12:15], 0 offen     // 000000005474: E05C1000 80836425
	v_mfma_f32_16x16x32_fp8_fp8 v[172:175], a[36:37], v[152:153], v[172:175]// 00000000547C: D3F300AC 0EB33124
	v_mfma_f32_16x16x32_fp8_fp8 v[172:175], a[38:39], v[154:155], v[172:175]// 000000005484: D3F300AC 0EB33526
	v_mfma_f32_16x16x32_fp8_fp8 v[176:179], a[40:41], v[136:137], v[176:179]// 00000000548C: D3F300B0 0EC31128
	v_mfma_f32_16x16x32_fp8_fp8 v[176:179], a[42:43], v[138:139], v[176:179]// 000000005494: D3F300B0 0EC3152A
	buffer_load_dwordx4 a[104:107], v38, s[12:15], 0 offen     // 00000000549C: E05C1000 80836826
	v_mfma_f32_16x16x32_fp8_fp8 v[180:183], a[40:41], v[152:153], v[180:183]// 0000000054A4: D3F300B4 0ED33128
	v_mfma_f32_16x16x32_fp8_fp8 v[180:183], a[42:43], v[154:155], v[180:183]// 0000000054AC: D3F300B4 0ED3352A
	v_mfma_f32_16x16x32_fp8_fp8 v[184:187], a[44:45], v[136:137], v[184:187]// 0000000054B4: D3F300B8 0EE3112C
	v_mfma_f32_16x16x32_fp8_fp8 v[184:187], a[46:47], v[138:139], v[184:187]// 0000000054BC: D3F300B8 0EE3152E
	buffer_load_dwordx4 a[108:111], v39, s[12:15], 0 offen     // 0000000054C4: E05C1000 80836C27
	s_add_u32 s12, s78, s12                                    // 0000000054CC: 800C0C4E
	s_addc_u32 s13, 0, s13                                     // 0000000054D0: 820D0D80
	v_mfma_f32_16x16x32_fp8_fp8 v[188:191], a[44:45], v[152:153], v[188:191]// 0000000054D4: D3F300BC 0EF3312C
	v_mfma_f32_16x16x32_fp8_fp8 v[188:191], a[46:47], v[154:155], v[188:191]// 0000000054DC: D3F300BC 0EF3352E
	s_waitcnt vmcnt(28)                                        // 0000000054E4: BF8C4F7C
	v_mfma_f32_16x16x32_fp8_fp8 v[160:163], a[48:49], v[140:141], v[160:163]// 0000000054E8: D3F300A0 0E831930
	v_mfma_f32_16x16x32_fp8_fp8 v[160:163], a[50:51], v[142:143], v[160:163]// 0000000054F0: D3F300A0 0E831D32
	buffer_load_dwordx4 a[112:115], v36, s[12:15], 0 offen     // 0000000054F8: E05C1000 80837024
	v_mfma_f32_16x16x32_fp8_fp8 v[164:167], a[48:49], v[156:157], v[164:167]// 000000005500: D3F300A4 0E933930
	v_mfma_f32_16x16x32_fp8_fp8 v[164:167], a[50:51], v[158:159], v[164:167]// 000000005508: D3F300A4 0E933D32
	buffer_load_dword v12, v5, s[16:19], 0 offen               // 000000005510: E0501000 80040C05
	v_mfma_f32_16x16x32_fp8_fp8 v[168:171], a[52:53], v[140:141], v[168:171]// 000000005518: D3F300A8 0EA31934
	v_mfma_f32_16x16x32_fp8_fp8 v[168:171], a[54:55], v[142:143], v[168:171]// 000000005520: D3F300A8 0EA31D36
	buffer_load_dwordx4 a[116:119], v37, s[12:15], 0 offen     // 000000005528: E05C1000 80837425
	v_mfma_f32_16x16x32_fp8_fp8 v[172:175], a[52:53], v[156:157], v[172:175]// 000000005530: D3F300AC 0EB33934
	v_mfma_f32_16x16x32_fp8_fp8 v[172:175], a[54:55], v[158:159], v[172:175]// 000000005538: D3F300AC 0EB33D36
	v_mfma_f32_16x16x32_fp8_fp8 v[176:179], a[56:57], v[140:141], v[176:179]// 000000005540: D3F300B0 0EC31938
	v_mfma_f32_16x16x32_fp8_fp8 v[176:179], a[58:59], v[142:143], v[176:179]// 000000005548: D3F300B0 0EC31D3A
	buffer_load_dwordx4 a[120:123], v38, s[12:15], 0 offen     // 000000005550: E05C1000 80837826
	v_mfma_f32_16x16x32_fp8_fp8 v[180:183], a[56:57], v[156:157], v[180:183]// 000000005558: D3F300B4 0ED33938
	v_mfma_f32_16x16x32_fp8_fp8 v[180:183], a[58:59], v[158:159], v[180:183]// 000000005560: D3F300B4 0ED33D3A
	v_mfma_f32_16x16x32_fp8_fp8 v[184:187], a[60:61], v[140:141], v[184:187]// 000000005568: D3F300B8 0EE3193C
	v_mfma_f32_16x16x32_fp8_fp8 v[184:187], a[62:63], v[142:143], v[184:187]// 000000005570: D3F300B8 0EE31D3E
	buffer_load_dwordx4 a[124:127], v39, s[12:15], 0 offen     // 000000005578: E05C1000 80837C27
	v_mfma_f32_16x16x32_fp8_fp8 v[188:191], a[60:61], v[156:157], v[188:191]// 000000005580: D3F300BC 0EF3393C
	v_mfma_f32_16x16x32_fp8_fp8 v[188:191], a[62:63], v[158:159], v[188:191]// 000000005588: D3F300BC 0EF33D3E
	s_add_u32 s60, 0x200, s80                                  // 000000005590: 803C50FF 00000200
	s_cmp_lt_u32 s60, s81                                      // 000000005598: BF0A513C
	s_cselect_b32 s56, s56, 0                                  // 00000000559C: 85388038
	s_cselect_b32 s78, s78, 0                                  // 0000000055A0: 854E804E
	s_cselect_b32 s79, s79, 0                                  // 0000000055A4: 854F804F
	s_add_u32 s12, s56, s12                                    // 0000000055A8: 800C0C38
	s_addc_u32 s13, 0, s13                                     // 0000000055AC: 820D0D80
	s_add_u32 s16, s79, s16                                    // 0000000055B0: 8010104F
	s_addc_u32 s17, 0, s17                                     // 0000000055B4: 82111180
	v_mul_f32_e32 v160, v22, v160                              // 0000000055B8: 0B414116
	v_mul_f32_e32 v161, v22, v161                              // 0000000055BC: 0B434316
	v_mul_f32_e32 v162, v22, v162                              // 0000000055C0: 0B454516
	v_mul_f32_e32 v163, v22, v163                              // 0000000055C4: 0B474716
	v_mul_f32_dpp v160, v11, v160 row_newbcast:0 row_mask:0xf bank_mask:0xf// 0000000055C8: 0B4140FA FF01500B
	v_mul_f32_dpp v161, v11, v161 row_newbcast:1 row_mask:0xf bank_mask:0xf// 0000000055D0: 0B4342FA FF01510B
	v_mul_f32_dpp v162, v11, v162 row_newbcast:2 row_mask:0xf bank_mask:0xf// 0000000055D8: 0B4544FA FF01520B
	v_mul_f32_dpp v163, v11, v163 row_newbcast:3 row_mask:0xf bank_mask:0xf// 0000000055E0: 0B4746FA FF01530B
	v_mul_f32_e32 v164, v23, v164                              // 0000000055E8: 0B494917
	v_mul_f32_e32 v165, v23, v165                              // 0000000055EC: 0B4B4B17
	v_mul_f32_e32 v166, v23, v166                              // 0000000055F0: 0B4D4D17
	v_mul_f32_e32 v167, v23, v167                              // 0000000055F4: 0B4F4F17
	v_mul_f32_dpp v164, v11, v164 row_newbcast:0 row_mask:0xf bank_mask:0xf// 0000000055F8: 0B4948FA FF01500B
	v_mul_f32_dpp v165, v11, v165 row_newbcast:1 row_mask:0xf bank_mask:0xf// 000000005600: 0B4B4AFA FF01510B
	v_mul_f32_dpp v166, v11, v166 row_newbcast:2 row_mask:0xf bank_mask:0xf// 000000005608: 0B4D4CFA FF01520B
	v_mul_f32_dpp v167, v11, v167 row_newbcast:3 row_mask:0xf bank_mask:0xf// 000000005610: 0B4F4EFA FF01530B
	v_mul_f32_e32 v168, v22, v168                              // 000000005618: 0B515116
	v_mul_f32_e32 v169, v22, v169                              // 00000000561C: 0B535316
	v_mul_f32_e32 v170, v22, v170                              // 000000005620: 0B555516
	v_mul_f32_e32 v171, v22, v171                              // 000000005624: 0B575716
	v_mul_f32_dpp v168, v11, v168 row_newbcast:4 row_mask:0xf bank_mask:0xf// 000000005628: 0B5150FA FF01540B
	v_mul_f32_dpp v169, v11, v169 row_newbcast:5 row_mask:0xf bank_mask:0xf// 000000005630: 0B5352FA FF01550B
	v_mul_f32_dpp v170, v11, v170 row_newbcast:6 row_mask:0xf bank_mask:0xf// 000000005638: 0B5554FA FF01560B
	v_mul_f32_dpp v171, v11, v171 row_newbcast:7 row_mask:0xf bank_mask:0xf// 000000005640: 0B5756FA FF01570B
	v_mul_f32_e32 v172, v23, v172                              // 000000005648: 0B595917
	v_mul_f32_e32 v173, v23, v173                              // 00000000564C: 0B5B5B17
	v_mul_f32_e32 v174, v23, v174                              // 000000005650: 0B5D5D17
	v_mul_f32_e32 v175, v23, v175                              // 000000005654: 0B5F5F17
	v_mul_f32_dpp v172, v11, v172 row_newbcast:4 row_mask:0xf bank_mask:0xf// 000000005658: 0B5958FA FF01540B
	v_mul_f32_dpp v173, v11, v173 row_newbcast:5 row_mask:0xf bank_mask:0xf// 000000005660: 0B5B5AFA FF01550B
	v_mul_f32_dpp v174, v11, v174 row_newbcast:6 row_mask:0xf bank_mask:0xf// 000000005668: 0B5D5CFA FF01560B
	v_mul_f32_dpp v175, v11, v175 row_newbcast:7 row_mask:0xf bank_mask:0xf// 000000005670: 0B5F5EFA FF01570B
	v_mul_f32_e32 v176, v22, v176                              // 000000005678: 0B616116
	v_mul_f32_e32 v177, v22, v177                              // 00000000567C: 0B636316
	v_mul_f32_e32 v178, v22, v178                              // 000000005680: 0B656516
	v_mul_f32_e32 v179, v22, v179                              // 000000005684: 0B676716
	v_mul_f32_dpp v176, v11, v176 row_newbcast:8 row_mask:0xf bank_mask:0xf// 000000005688: 0B6160FA FF01580B
	v_mul_f32_dpp v177, v11, v177 row_newbcast:9 row_mask:0xf bank_mask:0xf// 000000005690: 0B6362FA FF01590B
	v_mul_f32_dpp v178, v11, v178 row_newbcast:10 row_mask:0xf bank_mask:0xf// 000000005698: 0B6564FA FF015A0B
	v_mul_f32_dpp v179, v11, v179 row_newbcast:11 row_mask:0xf bank_mask:0xf// 0000000056A0: 0B6766FA FF015B0B
	v_mul_f32_e32 v180, v23, v180                              // 0000000056A8: 0B696917
	v_mul_f32_e32 v181, v23, v181                              // 0000000056AC: 0B6B6B17
	v_mul_f32_e32 v182, v23, v182                              // 0000000056B0: 0B6D6D17
	v_mul_f32_e32 v183, v23, v183                              // 0000000056B4: 0B6F6F17
	v_mul_f32_dpp v180, v11, v180 row_newbcast:8 row_mask:0xf bank_mask:0xf// 0000000056B8: 0B6968FA FF01580B
	v_mul_f32_dpp v181, v11, v181 row_newbcast:9 row_mask:0xf bank_mask:0xf// 0000000056C0: 0B6B6AFA FF01590B
	v_mul_f32_dpp v182, v11, v182 row_newbcast:10 row_mask:0xf bank_mask:0xf// 0000000056C8: 0B6D6CFA FF015A0B
	v_mul_f32_dpp v183, v11, v183 row_newbcast:11 row_mask:0xf bank_mask:0xf// 0000000056D0: 0B6F6EFA FF015B0B
	v_mul_f32_e32 v184, v22, v184                              // 0000000056D8: 0B717116
	v_mul_f32_e32 v185, v22, v185                              // 0000000056DC: 0B737316
	v_mul_f32_e32 v186, v22, v186                              // 0000000056E0: 0B757516
	v_mul_f32_e32 v187, v22, v187                              // 0000000056E4: 0B777716
	v_mul_f32_dpp v184, v11, v184 row_newbcast:12 row_mask:0xf bank_mask:0xf// 0000000056E8: 0B7170FA FF015C0B
	v_mul_f32_dpp v185, v11, v185 row_newbcast:13 row_mask:0xf bank_mask:0xf// 0000000056F0: 0B7372FA FF015D0B
	v_mul_f32_dpp v186, v11, v186 row_newbcast:14 row_mask:0xf bank_mask:0xf// 0000000056F8: 0B7574FA FF015E0B
	v_mul_f32_dpp v187, v11, v187 row_newbcast:15 row_mask:0xf bank_mask:0xf// 000000005700: 0B7776FA FF015F0B
	v_mul_f32_e32 v188, v23, v188                              // 000000005708: 0B797917
	v_mul_f32_e32 v189, v23, v189                              // 00000000570C: 0B7B7B17
	v_mul_f32_e32 v190, v23, v190                              // 000000005710: 0B7D7D17
	v_mul_f32_e32 v191, v23, v191                              // 000000005714: 0B7F7F17
	v_mul_f32_dpp v188, v11, v188 row_newbcast:12 row_mask:0xf bank_mask:0xf// 000000005718: 0B7978FA FF015C0B
	v_mul_f32_dpp v189, v11, v189 row_newbcast:13 row_mask:0xf bank_mask:0xf// 000000005720: 0B7B7AFA FF015D0B
	v_mul_f32_dpp v190, v11, v190 row_newbcast:14 row_mask:0xf bank_mask:0xf// 000000005728: 0B7D7CFA FF015E0B
	v_mul_f32_dpp v191, v11, v191 row_newbcast:15 row_mask:0xf bank_mask:0xf// 000000005730: 0B7F7EFA FF015F0B
	v_cmp_u_f32_e64 s[48:49], v160, v160                       // 000000005738: D0480030 000341A0
	v_add3_u32 v40, v160, v43, 1                               // 000000005740: D1FF0028 020657A0
	v_cndmask_b32_e64 v46, v40, v42, s[48:49]                  // 000000005748: D100002E 00C25528
	v_cmp_u_f32_e64 s[48:49], v161, v161                       // 000000005750: D0480030 000343A1
	v_add3_u32 v40, v161, v43, 1                               // 000000005758: D1FF0028 020657A1
	v_cndmask_b32_e64 v47, v40, v42, s[48:49]                  // 000000005760: D100002F 00C25528
	v_perm_b32 v160, v47, v46, s52                             // 000000005768: D1ED00A0 00D25D2F
	v_cmp_u_f32_e64 s[48:49], v162, v162                       // 000000005770: D0480030 000345A2
	v_add3_u32 v40, v162, v43, 1                               // 000000005778: D1FF0028 020657A2
	v_cndmask_b32_e64 v46, v40, v42, s[48:49]                  // 000000005780: D100002E 00C25528
	v_cmp_u_f32_e64 s[48:49], v163, v163                       // 000000005788: D0480030 000347A3
	v_add3_u32 v40, v163, v43, 1                               // 000000005790: D1FF0028 020657A3
	v_cndmask_b32_e64 v47, v40, v42, s[48:49]                  // 000000005798: D100002F 00C25528
	v_perm_b32 v161, v47, v46, s52                             // 0000000057A0: D1ED00A1 00D25D2F
	v_cmp_u_f32_e64 s[48:49], v164, v164                       // 0000000057A8: D0480030 000349A4
	v_add3_u32 v40, v164, v43, 1                               // 0000000057B0: D1FF0028 020657A4
	v_cndmask_b32_e64 v46, v40, v42, s[48:49]                  // 0000000057B8: D100002E 00C25528
	v_cmp_u_f32_e64 s[48:49], v165, v165                       // 0000000057C0: D0480030 00034BA5
	v_add3_u32 v40, v165, v43, 1                               // 0000000057C8: D1FF0028 020657A5
	v_cndmask_b32_e64 v47, v40, v42, s[48:49]                  // 0000000057D0: D100002F 00C25528
	v_perm_b32 v162, v47, v46, s52                             // 0000000057D8: D1ED00A2 00D25D2F
	v_cmp_u_f32_e64 s[48:49], v166, v166                       // 0000000057E0: D0480030 00034DA6
	v_add3_u32 v40, v166, v43, 1                               // 0000000057E8: D1FF0028 020657A6
	v_cndmask_b32_e64 v46, v40, v42, s[48:49]                  // 0000000057F0: D100002E 00C25528
	v_cmp_u_f32_e64 s[48:49], v167, v167                       // 0000000057F8: D0480030 00034FA7
	v_add3_u32 v40, v167, v43, 1                               // 000000005800: D1FF0028 020657A7
	v_cndmask_b32_e64 v47, v40, v42, s[48:49]                  // 000000005808: D100002F 00C25528
	v_perm_b32 v163, v47, v46, s52                             // 000000005810: D1ED00A3 00D25D2F
	v_cmp_u_f32_e64 s[48:49], v168, v168                       // 000000005818: D0480030 000351A8
	v_add3_u32 v40, v168, v43, 1                               // 000000005820: D1FF0028 020657A8
	v_cndmask_b32_e64 v46, v40, v42, s[48:49]                  // 000000005828: D100002E 00C25528
	v_cmp_u_f32_e64 s[48:49], v169, v169                       // 000000005830: D0480030 000353A9
	v_add3_u32 v40, v169, v43, 1                               // 000000005838: D1FF0028 020657A9
	v_cndmask_b32_e64 v47, v40, v42, s[48:49]                  // 000000005840: D100002F 00C25528
	v_perm_b32 v164, v47, v46, s52                             // 000000005848: D1ED00A4 00D25D2F
	v_cmp_u_f32_e64 s[48:49], v170, v170                       // 000000005850: D0480030 000355AA
	v_add3_u32 v40, v170, v43, 1                               // 000000005858: D1FF0028 020657AA
	v_cndmask_b32_e64 v46, v40, v42, s[48:49]                  // 000000005860: D100002E 00C25528
	v_cmp_u_f32_e64 s[48:49], v171, v171                       // 000000005868: D0480030 000357AB
	v_add3_u32 v40, v171, v43, 1                               // 000000005870: D1FF0028 020657AB
	v_cndmask_b32_e64 v47, v40, v42, s[48:49]                  // 000000005878: D100002F 00C25528
	v_perm_b32 v165, v47, v46, s52                             // 000000005880: D1ED00A5 00D25D2F
	v_cmp_u_f32_e64 s[48:49], v172, v172                       // 000000005888: D0480030 000359AC
	v_add3_u32 v40, v172, v43, 1                               // 000000005890: D1FF0028 020657AC
	v_cndmask_b32_e64 v46, v40, v42, s[48:49]                  // 000000005898: D100002E 00C25528
	v_cmp_u_f32_e64 s[48:49], v173, v173                       // 0000000058A0: D0480030 00035BAD
	v_add3_u32 v40, v173, v43, 1                               // 0000000058A8: D1FF0028 020657AD
	v_cndmask_b32_e64 v47, v40, v42, s[48:49]                  // 0000000058B0: D100002F 00C25528
	v_perm_b32 v166, v47, v46, s52                             // 0000000058B8: D1ED00A6 00D25D2F
	v_cmp_u_f32_e64 s[48:49], v174, v174                       // 0000000058C0: D0480030 00035DAE
	v_add3_u32 v40, v174, v43, 1                               // 0000000058C8: D1FF0028 020657AE
	v_cndmask_b32_e64 v46, v40, v42, s[48:49]                  // 0000000058D0: D100002E 00C25528
	v_cmp_u_f32_e64 s[48:49], v175, v175                       // 0000000058D8: D0480030 00035FAF
	v_add3_u32 v40, v175, v43, 1                               // 0000000058E0: D1FF0028 020657AF
	v_cndmask_b32_e64 v47, v40, v42, s[48:49]                  // 0000000058E8: D100002F 00C25528
	v_perm_b32 v167, v47, v46, s52                             // 0000000058F0: D1ED00A7 00D25D2F
	v_cmp_u_f32_e64 s[48:49], v176, v176                       // 0000000058F8: D0480030 000361B0
	v_add3_u32 v40, v176, v43, 1                               // 000000005900: D1FF0028 020657B0
	v_cndmask_b32_e64 v46, v40, v42, s[48:49]                  // 000000005908: D100002E 00C25528
	v_cmp_u_f32_e64 s[48:49], v177, v177                       // 000000005910: D0480030 000363B1
	v_add3_u32 v40, v177, v43, 1                               // 000000005918: D1FF0028 020657B1
	v_cndmask_b32_e64 v47, v40, v42, s[48:49]                  // 000000005920: D100002F 00C25528
	v_perm_b32 v168, v47, v46, s52                             // 000000005928: D1ED00A8 00D25D2F
	v_cmp_u_f32_e64 s[48:49], v178, v178                       // 000000005930: D0480030 000365B2
	v_add3_u32 v40, v178, v43, 1                               // 000000005938: D1FF0028 020657B2
	v_cndmask_b32_e64 v46, v40, v42, s[48:49]                  // 000000005940: D100002E 00C25528
	v_cmp_u_f32_e64 s[48:49], v179, v179                       // 000000005948: D0480030 000367B3
	v_add3_u32 v40, v179, v43, 1                               // 000000005950: D1FF0028 020657B3
	v_cndmask_b32_e64 v47, v40, v42, s[48:49]                  // 000000005958: D100002F 00C25528
	v_perm_b32 v169, v47, v46, s52                             // 000000005960: D1ED00A9 00D25D2F
	v_cmp_u_f32_e64 s[48:49], v180, v180                       // 000000005968: D0480030 000369B4
	v_add3_u32 v40, v180, v43, 1                               // 000000005970: D1FF0028 020657B4
	v_cndmask_b32_e64 v46, v40, v42, s[48:49]                  // 000000005978: D100002E 00C25528
	v_cmp_u_f32_e64 s[48:49], v181, v181                       // 000000005980: D0480030 00036BB5
	v_add3_u32 v40, v181, v43, 1                               // 000000005988: D1FF0028 020657B5
	v_cndmask_b32_e64 v47, v40, v42, s[48:49]                  // 000000005990: D100002F 00C25528
	v_perm_b32 v170, v47, v46, s52                             // 000000005998: D1ED00AA 00D25D2F
	v_cmp_u_f32_e64 s[48:49], v182, v182                       // 0000000059A0: D0480030 00036DB6
	v_add3_u32 v40, v182, v43, 1                               // 0000000059A8: D1FF0028 020657B6
	v_cndmask_b32_e64 v46, v40, v42, s[48:49]                  // 0000000059B0: D100002E 00C25528
	v_cmp_u_f32_e64 s[48:49], v183, v183                       // 0000000059B8: D0480030 00036FB7
	v_add3_u32 v40, v183, v43, 1                               // 0000000059C0: D1FF0028 020657B7
	v_cndmask_b32_e64 v47, v40, v42, s[48:49]                  // 0000000059C8: D100002F 00C25528
	v_perm_b32 v171, v47, v46, s52                             // 0000000059D0: D1ED00AB 00D25D2F
	v_cmp_u_f32_e64 s[48:49], v184, v184                       // 0000000059D8: D0480030 000371B8
	v_add3_u32 v40, v184, v43, 1                               // 0000000059E0: D1FF0028 020657B8
	v_cndmask_b32_e64 v46, v40, v42, s[48:49]                  // 0000000059E8: D100002E 00C25528
	v_cmp_u_f32_e64 s[48:49], v185, v185                       // 0000000059F0: D0480030 000373B9
	v_add3_u32 v40, v185, v43, 1                               // 0000000059F8: D1FF0028 020657B9
	v_cndmask_b32_e64 v47, v40, v42, s[48:49]                  // 000000005A00: D100002F 00C25528
	v_perm_b32 v172, v47, v46, s52                             // 000000005A08: D1ED00AC 00D25D2F
	v_cmp_u_f32_e64 s[48:49], v186, v186                       // 000000005A10: D0480030 000375BA
	v_add3_u32 v40, v186, v43, 1                               // 000000005A18: D1FF0028 020657BA
	v_cndmask_b32_e64 v46, v40, v42, s[48:49]                  // 000000005A20: D100002E 00C25528
	v_cmp_u_f32_e64 s[48:49], v187, v187                       // 000000005A28: D0480030 000377BB
	v_add3_u32 v40, v187, v43, 1                               // 000000005A30: D1FF0028 020657BB
	v_cndmask_b32_e64 v47, v40, v42, s[48:49]                  // 000000005A38: D100002F 00C25528
	v_perm_b32 v173, v47, v46, s52                             // 000000005A40: D1ED00AD 00D25D2F
	v_cmp_u_f32_e64 s[48:49], v188, v188                       // 000000005A48: D0480030 000379BC
	v_add3_u32 v40, v188, v43, 1                               // 000000005A50: D1FF0028 020657BC
	v_cndmask_b32_e64 v46, v40, v42, s[48:49]                  // 000000005A58: D100002E 00C25528
	v_cmp_u_f32_e64 s[48:49], v189, v189                       // 000000005A60: D0480030 00037BBD
	v_add3_u32 v40, v189, v43, 1                               // 000000005A68: D1FF0028 020657BD
	v_cndmask_b32_e64 v47, v40, v42, s[48:49]                  // 000000005A70: D100002F 00C25528
	v_perm_b32 v174, v47, v46, s52                             // 000000005A78: D1ED00AE 00D25D2F
	v_cmp_u_f32_e64 s[48:49], v190, v190                       // 000000005A80: D0480030 00037DBE
	v_add3_u32 v40, v190, v43, 1                               // 000000005A88: D1FF0028 020657BE
	v_cndmask_b32_e64 v46, v40, v42, s[48:49]                  // 000000005A90: D100002E 00C25528
	v_cmp_u_f32_e64 s[48:49], v191, v191                       // 000000005A98: D0480030 00037FBF
	v_add3_u32 v40, v191, v43, 1                               // 000000005AA0: D1FF0028 020657BF
	v_cndmask_b32_e64 v47, v40, v42, s[48:49]                  // 000000005AA8: D100002F 00C25528
	v_perm_b32 v175, v47, v46, s52                             // 000000005AB0: D1ED00AF 00D25D2F
	ds_write_b64 v3, v[160:161] offset:26880                   // 000000005AB8: D89A6900 0000A003
	ds_write_b64 v3, v[162:163] offset:35584                   // 000000005AC0: D89A8B00 0000A203
	ds_write_b64 v3, v[164:165] offset:29056                   // 000000005AC8: D89A7180 0000A403
	ds_write_b64 v3, v[166:167] offset:37760                   // 000000005AD0: D89A9380 0000A603
	ds_write_b64 v3, v[168:169] offset:31232                   // 000000005AD8: D89A7A00 0000A803
	ds_write_b64 v3, v[170:171] offset:39936                   // 000000005AE0: D89A9C00 0000AA03
	ds_write_b64 v3, v[172:173] offset:33408                   // 000000005AE8: D89A8280 0000AC03
	ds_write_b64 v3, v[174:175] offset:42112                   // 000000005AF0: D89AA480 0000AE03
	s_waitcnt lgkmcnt(0)                                       // 000000005AF8: BF8CC07F
	s_barrier                                                  // 000000005AFC: BF8A0000
	ds_read_b32 v64, v4 offset:26880                           // 000000005B00: D86C6900 40000004
	ds_read_b32 v65, v4 offset:31232                           // 000000005B08: D86C7A00 41000004
	ds_read_b32 v66, v4 offset:26912                           // 000000005B10: D86C6920 42000004
	ds_read_b32 v67, v4 offset:31264                           // 000000005B18: D86C7A20 43000004
	ds_read_b32 v68, v4 offset:26944                           // 000000005B20: D86C6940 44000004
	ds_read_b32 v69, v4 offset:31296                           // 000000005B28: D86C7A40 45000004
	ds_read_b32 v70, v4 offset:26976                           // 000000005B30: D86C6960 46000004
	ds_read_b32 v71, v4 offset:31328                           // 000000005B38: D86C7A60 47000004
	ds_read_b32 v72, v4 offset:35584                           // 000000005B40: D86C8B00 48000004
	ds_read_b32 v73, v4 offset:39936                           // 000000005B48: D86C9C00 49000004
	ds_read_b32 v74, v4 offset:35616                           // 000000005B50: D86C8B20 4A000004
	ds_read_b32 v75, v4 offset:39968                           // 000000005B58: D86C9C20 4B000004
	ds_read_b32 v76, v4 offset:35648                           // 000000005B60: D86C8B40 4C000004
	ds_read_b32 v77, v4 offset:40000                           // 000000005B68: D86C9C40 4D000004
	ds_read_b32 v78, v4 offset:35680                           // 000000005B70: D86C8B60 4E000004
	ds_read_b32 v79, v4 offset:40032                           // 000000005B78: D86C9C60 4F000004
	s_waitcnt lgkmcnt(0)                                       // 000000005B80: BF8CC07F
	s_mov_b64 exec, s[20:21]                                   // 000000005B84: BEFE0114
	global_atomic_pk_add_bf16 v80, v64, s[8:9]                 // 000000005B88: DD488000 00084050
	s_mov_b64 exec, s[36:37]                                   // 000000005B90: BEFE0124
	s_mov_b64 exec, s[20:21]                                   // 000000005B94: BEFE0114
	global_atomic_pk_add_bf16 v80, v65, s[8:9] offset:256      // 000000005B98: DD488100 00084150
	s_mov_b64 exec, s[36:37]                                   // 000000005BA0: BEFE0124
	s_mov_b64 exec, s[22:23]                                   // 000000005BA4: BEFE0116
	global_atomic_pk_add_bf16 v82, v66, s[8:9]                 // 000000005BA8: DD488000 00084252
	s_mov_b64 exec, s[36:37]                                   // 000000005BB0: BEFE0124
	s_mov_b64 exec, s[22:23]                                   // 000000005BB4: BEFE0116
	global_atomic_pk_add_bf16 v82, v67, s[8:9] offset:256      // 000000005BB8: DD488100 00084352
	s_mov_b64 exec, s[36:37]                                   // 000000005BC0: BEFE0124
	s_mov_b64 exec, s[24:25]                                   // 000000005BC4: BEFE0118
	global_atomic_pk_add_bf16 v84, v68, s[8:9]                 // 000000005BC8: DD488000 00084454
	s_mov_b64 exec, s[36:37]                                   // 000000005BD0: BEFE0124
	s_mov_b64 exec, s[24:25]                                   // 000000005BD4: BEFE0118
	global_atomic_pk_add_bf16 v84, v69, s[8:9] offset:256      // 000000005BD8: DD488100 00084554
	s_mov_b64 exec, s[36:37]                                   // 000000005BE0: BEFE0124
	s_mov_b64 exec, s[26:27]                                   // 000000005BE4: BEFE011A
	global_atomic_pk_add_bf16 v86, v70, s[8:9]                 // 000000005BE8: DD488000 00084656
	s_mov_b64 exec, s[36:37]                                   // 000000005BF0: BEFE0124
	s_mov_b64 exec, s[26:27]                                   // 000000005BF4: BEFE011A
	global_atomic_pk_add_bf16 v86, v71, s[8:9] offset:256      // 000000005BF8: DD488100 00084756
	s_mov_b64 exec, s[36:37]                                   // 000000005C00: BEFE0124
	s_mov_b64 exec, s[28:29]                                   // 000000005C04: BEFE011C
	global_atomic_pk_add_bf16 v88, v72, s[8:9]                 // 000000005C08: DD488000 00084858
	s_mov_b64 exec, s[36:37]                                   // 000000005C10: BEFE0124
	s_mov_b64 exec, s[28:29]                                   // 000000005C14: BEFE011C
	global_atomic_pk_add_bf16 v88, v73, s[8:9] offset:256      // 000000005C18: DD488100 00084958
	s_mov_b64 exec, s[36:37]                                   // 000000005C20: BEFE0124
	s_mov_b64 exec, s[30:31]                                   // 000000005C24: BEFE011E
	global_atomic_pk_add_bf16 v90, v74, s[8:9]                 // 000000005C28: DD488000 00084A5A
	s_mov_b64 exec, s[36:37]                                   // 000000005C30: BEFE0124
	s_mov_b64 exec, s[30:31]                                   // 000000005C34: BEFE011E
	global_atomic_pk_add_bf16 v90, v75, s[8:9] offset:256      // 000000005C38: DD488100 00084B5A
	s_mov_b64 exec, s[36:37]                                   // 000000005C40: BEFE0124
	s_mov_b64 exec, s[32:33]                                   // 000000005C44: BEFE0120
	global_atomic_pk_add_bf16 v92, v76, s[8:9]                 // 000000005C48: DD488000 00084C5C
	s_mov_b64 exec, s[36:37]                                   // 000000005C50: BEFE0124
	s_mov_b64 exec, s[32:33]                                   // 000000005C54: BEFE0120
	global_atomic_pk_add_bf16 v92, v77, s[8:9] offset:256      // 000000005C58: DD488100 00084D5C
	s_mov_b64 exec, s[36:37]                                   // 000000005C60: BEFE0124
	s_mov_b64 exec, s[34:35]                                   // 000000005C64: BEFE0122
	global_atomic_pk_add_bf16 v94, v78, s[8:9]                 // 000000005C68: DD488000 00084E5E
	s_mov_b64 exec, s[36:37]                                   // 000000005C70: BEFE0124
	s_mov_b64 exec, s[34:35]                                   // 000000005C74: BEFE0122
	global_atomic_pk_add_bf16 v94, v79, s[8:9] offset:256      // 000000005C78: DD488100 00084F5E
	s_mov_b64 exec, s[36:37]                                   // 000000005C80: BEFE0124
	s_add_u32 s8, s59, s8                                      // 000000005C84: 8008083B
	s_addc_u32 s9, 0, s9                                       // 000000005C88: 82090980
	s_addk_i32 s80, 0x100                                      // 000000005C8C: B7500100
	s_cmp_lt_i32 s80, s81                                      // 000000005C90: BF045150
	s_cbranch_scc0 label_0E16                                  // 000000005C94: BF840270
	s_waitcnt vmcnt(29)                                        // 000000005C98: BF8C4F7D
	s_barrier                                                  // 000000005C9C: BF8A0000
	v_mfma_f32_16x16x32_fp8_fp8 v[192:195], a[64:65], v[128:129], 0// 000000005CA0: D3F300C0 0A030140
	v_mfma_f32_16x16x32_fp8_fp8 v[192:195], a[66:67], v[130:131], v[192:195]// 000000005CA8: D3F300C0 0F030542
	buffer_load_dwordx4 a[0:3], v36, s[12:15], 0 offen         // 000000005CB0: E05C1000 80830024
	v_mfma_f32_16x16x32_fp8_fp8 v[196:199], a[64:65], v[144:145], 0// 000000005CB8: D3F300C4 0A032140
	v_mfma_f32_16x16x32_fp8_fp8 v[196:199], a[66:67], v[146:147], v[196:199]// 000000005CC0: D3F300C4 0F132542
	v_mfma_f32_16x16x32_fp8_fp8 v[200:203], a[68:69], v[128:129], 0// 000000005CC8: D3F300C8 0A030144
	v_mfma_f32_16x16x32_fp8_fp8 v[200:203], a[70:71], v[130:131], v[200:203]// 000000005CD0: D3F300C8 0F230546
	buffer_load_dwordx4 a[4:7], v37, s[12:15], 0 offen         // 000000005CD8: E05C1000 80830425
	v_mfma_f32_16x16x32_fp8_fp8 v[204:207], a[68:69], v[144:145], 0// 000000005CE0: D3F300CC 0A032144
	v_mfma_f32_16x16x32_fp8_fp8 v[204:207], a[70:71], v[146:147], v[204:207]// 000000005CE8: D3F300CC 0F332546
	v_mfma_f32_16x16x32_fp8_fp8 v[208:211], a[72:73], v[128:129], 0// 000000005CF0: D3F300D0 0A030148
	v_mfma_f32_16x16x32_fp8_fp8 v[208:211], a[74:75], v[130:131], v[208:211]// 000000005CF8: D3F300D0 0F43054A
	buffer_load_dwordx4 a[8:11], v38, s[12:15], 0 offen        // 000000005D00: E05C1000 80830826
	v_mfma_f32_16x16x32_fp8_fp8 v[212:215], a[72:73], v[144:145], 0// 000000005D08: D3F300D4 0A032148
	v_mfma_f32_16x16x32_fp8_fp8 v[212:215], a[74:75], v[146:147], v[212:215]// 000000005D10: D3F300D4 0F53254A
	v_mfma_f32_16x16x32_fp8_fp8 v[216:219], a[76:77], v[128:129], 0// 000000005D18: D3F300D8 0A03014C
	v_mfma_f32_16x16x32_fp8_fp8 v[216:219], a[78:79], v[130:131], v[216:219]// 000000005D20: D3F300D8 0F63054E
	buffer_load_dwordx4 a[12:15], v39, s[12:15], 0 offen       // 000000005D28: E05C1000 80830C27
	s_add_u32 s12, s78, s12                                    // 000000005D30: 800C0C4E
	s_addc_u32 s13, 0, s13                                     // 000000005D34: 820D0D80
	v_mfma_f32_16x16x32_fp8_fp8 v[220:223], a[76:77], v[144:145], 0// 000000005D38: D3F300DC 0A03214C
	v_mfma_f32_16x16x32_fp8_fp8 v[220:223], a[78:79], v[146:147], v[220:223]// 000000005D40: D3F300DC 0F73254E
	s_waitcnt vmcnt(29)                                        // 000000005D48: BF8C4F7D
	v_mfma_f32_16x16x32_fp8_fp8 v[192:195], a[80:81], v[132:133], v[192:195]// 000000005D4C: D3F300C0 0F030950
	v_mfma_f32_16x16x32_fp8_fp8 v[192:195], a[82:83], v[134:135], v[192:195]// 000000005D54: D3F300C0 0F030D52
	buffer_load_dwordx4 a[16:19], v36, s[12:15], 0 offen       // 000000005D5C: E05C1000 80831024
	v_mfma_f32_16x16x32_fp8_fp8 v[196:199], a[80:81], v[148:149], v[196:199]// 000000005D64: D3F300C4 0F132950
	v_mfma_f32_16x16x32_fp8_fp8 v[196:199], a[82:83], v[150:151], v[196:199]// 000000005D6C: D3F300C4 0F132D52
	v_mfma_f32_16x16x32_fp8_fp8 v[200:203], a[84:85], v[132:133], v[200:203]// 000000005D74: D3F300C8 0F230954
	v_mfma_f32_16x16x32_fp8_fp8 v[200:203], a[86:87], v[134:135], v[200:203]// 000000005D7C: D3F300C8 0F230D56
	buffer_load_dwordx4 a[20:23], v37, s[12:15], 0 offen       // 000000005D84: E05C1000 80831425
	v_mfma_f32_16x16x32_fp8_fp8 v[204:207], a[84:85], v[148:149], v[204:207]// 000000005D8C: D3F300CC 0F332954
	v_mfma_f32_16x16x32_fp8_fp8 v[204:207], a[86:87], v[150:151], v[204:207]// 000000005D94: D3F300CC 0F332D56
	v_mfma_f32_16x16x32_fp8_fp8 v[208:211], a[88:89], v[132:133], v[208:211]// 000000005D9C: D3F300D0 0F430958
	v_mfma_f32_16x16x32_fp8_fp8 v[208:211], a[90:91], v[134:135], v[208:211]// 000000005DA4: D3F300D0 0F430D5A
	buffer_load_dwordx4 a[24:27], v38, s[12:15], 0 offen       // 000000005DAC: E05C1000 80831826
	v_mfma_f32_16x16x32_fp8_fp8 v[212:215], a[88:89], v[148:149], v[212:215]// 000000005DB4: D3F300D4 0F532958
	v_mfma_f32_16x16x32_fp8_fp8 v[212:215], a[90:91], v[150:151], v[212:215]// 000000005DBC: D3F300D4 0F532D5A
	v_mfma_f32_16x16x32_fp8_fp8 v[216:219], a[92:93], v[132:133], v[216:219]// 000000005DC4: D3F300D8 0F63095C
	v_mfma_f32_16x16x32_fp8_fp8 v[216:219], a[94:95], v[134:135], v[216:219]// 000000005DCC: D3F300D8 0F630D5E
	buffer_load_dwordx4 a[28:31], v39, s[12:15], 0 offen       // 000000005DD4: E05C1000 80831C27
	s_add_u32 s12, s78, s12                                    // 000000005DDC: 800C0C4E
	s_addc_u32 s13, 0, s13                                     // 000000005DE0: 820D0D80
	v_mfma_f32_16x16x32_fp8_fp8 v[220:223], a[92:93], v[148:149], v[220:223]// 000000005DE4: D3F300DC 0F73295C
	v_mfma_f32_16x16x32_fp8_fp8 v[220:223], a[94:95], v[150:151], v[220:223]// 000000005DEC: D3F300DC 0F732D5E
	s_waitcnt vmcnt(29)                                        // 000000005DF4: BF8C4F7D
	v_mfma_f32_16x16x32_fp8_fp8 v[192:195], a[96:97], v[136:137], v[192:195]// 000000005DF8: D3F300C0 0F031160
	v_mfma_f32_16x16x32_fp8_fp8 v[192:195], a[98:99], v[138:139], v[192:195]// 000000005E00: D3F300C0 0F031562
	buffer_load_dwordx4 a[32:35], v36, s[12:15], 0 offen       // 000000005E08: E05C1000 80832024
	v_mfma_f32_16x16x32_fp8_fp8 v[196:199], a[96:97], v[152:153], v[196:199]// 000000005E10: D3F300C4 0F133160
	v_mfma_f32_16x16x32_fp8_fp8 v[196:199], a[98:99], v[154:155], v[196:199]// 000000005E18: D3F300C4 0F133562
	v_mfma_f32_16x16x32_fp8_fp8 v[200:203], a[100:101], v[136:137], v[200:203]// 000000005E20: D3F300C8 0F231164
	v_mfma_f32_16x16x32_fp8_fp8 v[200:203], a[102:103], v[138:139], v[200:203]// 000000005E28: D3F300C8 0F231566
	buffer_load_dwordx4 a[36:39], v37, s[12:15], 0 offen       // 000000005E30: E05C1000 80832425
	v_mfma_f32_16x16x32_fp8_fp8 v[204:207], a[100:101], v[152:153], v[204:207]// 000000005E38: D3F300CC 0F333164
	v_mfma_f32_16x16x32_fp8_fp8 v[204:207], a[102:103], v[154:155], v[204:207]// 000000005E40: D3F300CC 0F333566
	v_mfma_f32_16x16x32_fp8_fp8 v[208:211], a[104:105], v[136:137], v[208:211]// 000000005E48: D3F300D0 0F431168
	v_mfma_f32_16x16x32_fp8_fp8 v[208:211], a[106:107], v[138:139], v[208:211]// 000000005E50: D3F300D0 0F43156A
	buffer_load_dwordx4 a[40:43], v38, s[12:15], 0 offen       // 000000005E58: E05C1000 80832826
	v_mfma_f32_16x16x32_fp8_fp8 v[212:215], a[104:105], v[152:153], v[212:215]// 000000005E60: D3F300D4 0F533168
	v_mfma_f32_16x16x32_fp8_fp8 v[212:215], a[106:107], v[154:155], v[212:215]// 000000005E68: D3F300D4 0F53356A
	v_mfma_f32_16x16x32_fp8_fp8 v[216:219], a[108:109], v[136:137], v[216:219]// 000000005E70: D3F300D8 0F63116C
	v_mfma_f32_16x16x32_fp8_fp8 v[216:219], a[110:111], v[138:139], v[216:219]// 000000005E78: D3F300D8 0F63156E
	buffer_load_dwordx4 a[44:47], v39, s[12:15], 0 offen       // 000000005E80: E05C1000 80832C27
	s_add_u32 s12, s78, s12                                    // 000000005E88: 800C0C4E
	s_addc_u32 s13, 0, s13                                     // 000000005E8C: 820D0D80
	v_mfma_f32_16x16x32_fp8_fp8 v[220:223], a[108:109], v[152:153], v[220:223]// 000000005E90: D3F300DC 0F73316C
	v_mfma_f32_16x16x32_fp8_fp8 v[220:223], a[110:111], v[154:155], v[220:223]// 000000005E98: D3F300DC 0F73356E
	s_waitcnt vmcnt(28)                                        // 000000005EA0: BF8C4F7C
	v_mfma_f32_16x16x32_fp8_fp8 v[192:195], a[112:113], v[140:141], v[192:195]// 000000005EA4: D3F300C0 0F031970
	v_mfma_f32_16x16x32_fp8_fp8 v[192:195], a[114:115], v[142:143], v[192:195]// 000000005EAC: D3F300C0 0F031D72
	buffer_load_dwordx4 a[48:51], v36, s[12:15], 0 offen       // 000000005EB4: E05C1000 80833024
	v_mfma_f32_16x16x32_fp8_fp8 v[196:199], a[112:113], v[156:157], v[196:199]// 000000005EBC: D3F300C4 0F133970
	v_mfma_f32_16x16x32_fp8_fp8 v[196:199], a[114:115], v[158:159], v[196:199]// 000000005EC4: D3F300C4 0F133D72
	buffer_load_dword v11, v5, s[16:19], 0 offen               // 000000005ECC: E0501000 80040B05
	v_mfma_f32_16x16x32_fp8_fp8 v[200:203], a[116:117], v[140:141], v[200:203]// 000000005ED4: D3F300C8 0F231974
	v_mfma_f32_16x16x32_fp8_fp8 v[200:203], a[118:119], v[142:143], v[200:203]// 000000005EDC: D3F300C8 0F231D76
	buffer_load_dwordx4 a[52:55], v37, s[12:15], 0 offen       // 000000005EE4: E05C1000 80833425
	v_mfma_f32_16x16x32_fp8_fp8 v[204:207], a[116:117], v[156:157], v[204:207]// 000000005EEC: D3F300CC 0F333974
	v_mfma_f32_16x16x32_fp8_fp8 v[204:207], a[118:119], v[158:159], v[204:207]// 000000005EF4: D3F300CC 0F333D76
	v_mfma_f32_16x16x32_fp8_fp8 v[208:211], a[120:121], v[140:141], v[208:211]// 000000005EFC: D3F300D0 0F431978
	v_mfma_f32_16x16x32_fp8_fp8 v[208:211], a[122:123], v[142:143], v[208:211]// 000000005F04: D3F300D0 0F431D7A
	buffer_load_dwordx4 a[56:59], v38, s[12:15], 0 offen       // 000000005F0C: E05C1000 80833826
	v_mfma_f32_16x16x32_fp8_fp8 v[212:215], a[120:121], v[156:157], v[212:215]// 000000005F14: D3F300D4 0F533978
	v_mfma_f32_16x16x32_fp8_fp8 v[212:215], a[122:123], v[158:159], v[212:215]// 000000005F1C: D3F300D4 0F533D7A
	v_mfma_f32_16x16x32_fp8_fp8 v[216:219], a[124:125], v[140:141], v[216:219]// 000000005F24: D3F300D8 0F63197C
	v_mfma_f32_16x16x32_fp8_fp8 v[216:219], a[126:127], v[142:143], v[216:219]// 000000005F2C: D3F300D8 0F631D7E
	buffer_load_dwordx4 a[60:63], v39, s[12:15], 0 offen       // 000000005F34: E05C1000 80833C27
	v_mfma_f32_16x16x32_fp8_fp8 v[220:223], a[124:125], v[156:157], v[220:223]// 000000005F3C: D3F300DC 0F73397C
	v_mfma_f32_16x16x32_fp8_fp8 v[220:223], a[126:127], v[158:159], v[220:223]// 000000005F44: D3F300DC 0F733D7E
	s_add_u32 s60, 0x200, s80                                  // 000000005F4C: 803C50FF 00000200
	s_cmp_lt_u32 s60, s81                                      // 000000005F54: BF0A513C
	s_cselect_b32 s56, s56, 0                                  // 000000005F58: 85388038
	s_cselect_b32 s78, s78, 0                                  // 000000005F5C: 854E804E
	s_cselect_b32 s79, s79, 0                                  // 000000005F60: 854F804F
	s_add_u32 s12, s56, s12                                    // 000000005F64: 800C0C38
	s_addc_u32 s13, 0, s13                                     // 000000005F68: 820D0D80
	s_add_u32 s16, s79, s16                                    // 000000005F6C: 8010104F
	s_addc_u32 s17, 0, s17                                     // 000000005F70: 82111180
	v_mul_f32_e32 v192, v22, v192                              // 000000005F74: 0B818116
	v_mul_f32_e32 v193, v22, v193                              // 000000005F78: 0B838316
	v_mul_f32_e32 v194, v22, v194                              // 000000005F7C: 0B858516
	v_mul_f32_e32 v195, v22, v195                              // 000000005F80: 0B878716
	v_mul_f32_dpp v192, v12, v192 row_newbcast:0 row_mask:0xf bank_mask:0xf// 000000005F84: 0B8180FA FF01500C
	v_mul_f32_dpp v193, v12, v193 row_newbcast:1 row_mask:0xf bank_mask:0xf// 000000005F8C: 0B8382FA FF01510C
	v_mul_f32_dpp v194, v12, v194 row_newbcast:2 row_mask:0xf bank_mask:0xf// 000000005F94: 0B8584FA FF01520C
	v_mul_f32_dpp v195, v12, v195 row_newbcast:3 row_mask:0xf bank_mask:0xf// 000000005F9C: 0B8786FA FF01530C
	v_mul_f32_e32 v196, v23, v196                              // 000000005FA4: 0B898917
	v_mul_f32_e32 v197, v23, v197                              // 000000005FA8: 0B8B8B17
	v_mul_f32_e32 v198, v23, v198                              // 000000005FAC: 0B8D8D17
	v_mul_f32_e32 v199, v23, v199                              // 000000005FB0: 0B8F8F17
	v_mul_f32_dpp v196, v12, v196 row_newbcast:0 row_mask:0xf bank_mask:0xf// 000000005FB4: 0B8988FA FF01500C
	v_mul_f32_dpp v197, v12, v197 row_newbcast:1 row_mask:0xf bank_mask:0xf// 000000005FBC: 0B8B8AFA FF01510C
	v_mul_f32_dpp v198, v12, v198 row_newbcast:2 row_mask:0xf bank_mask:0xf// 000000005FC4: 0B8D8CFA FF01520C
	v_mul_f32_dpp v199, v12, v199 row_newbcast:3 row_mask:0xf bank_mask:0xf// 000000005FCC: 0B8F8EFA FF01530C
	v_mul_f32_e32 v200, v22, v200                              // 000000005FD4: 0B919116
	v_mul_f32_e32 v201, v22, v201                              // 000000005FD8: 0B939316
	v_mul_f32_e32 v202, v22, v202                              // 000000005FDC: 0B959516
	v_mul_f32_e32 v203, v22, v203                              // 000000005FE0: 0B979716
	v_mul_f32_dpp v200, v12, v200 row_newbcast:4 row_mask:0xf bank_mask:0xf// 000000005FE4: 0B9190FA FF01540C
	v_mul_f32_dpp v201, v12, v201 row_newbcast:5 row_mask:0xf bank_mask:0xf// 000000005FEC: 0B9392FA FF01550C
	v_mul_f32_dpp v202, v12, v202 row_newbcast:6 row_mask:0xf bank_mask:0xf// 000000005FF4: 0B9594FA FF01560C
	v_mul_f32_dpp v203, v12, v203 row_newbcast:7 row_mask:0xf bank_mask:0xf// 000000005FFC: 0B9796FA FF01570C
	v_mul_f32_e32 v204, v23, v204                              // 000000006004: 0B999917
	v_mul_f32_e32 v205, v23, v205                              // 000000006008: 0B9B9B17
	v_mul_f32_e32 v206, v23, v206                              // 00000000600C: 0B9D9D17
	v_mul_f32_e32 v207, v23, v207                              // 000000006010: 0B9F9F17
	v_mul_f32_dpp v204, v12, v204 row_newbcast:4 row_mask:0xf bank_mask:0xf// 000000006014: 0B9998FA FF01540C
	v_mul_f32_dpp v205, v12, v205 row_newbcast:5 row_mask:0xf bank_mask:0xf// 00000000601C: 0B9B9AFA FF01550C
	v_mul_f32_dpp v206, v12, v206 row_newbcast:6 row_mask:0xf bank_mask:0xf// 000000006024: 0B9D9CFA FF01560C
	v_mul_f32_dpp v207, v12, v207 row_newbcast:7 row_mask:0xf bank_mask:0xf// 00000000602C: 0B9F9EFA FF01570C
	v_mul_f32_e32 v208, v22, v208                              // 000000006034: 0BA1A116
	v_mul_f32_e32 v209, v22, v209                              // 000000006038: 0BA3A316
	v_mul_f32_e32 v210, v22, v210                              // 00000000603C: 0BA5A516
	v_mul_f32_e32 v211, v22, v211                              // 000000006040: 0BA7A716
	v_mul_f32_dpp v208, v12, v208 row_newbcast:8 row_mask:0xf bank_mask:0xf// 000000006044: 0BA1A0FA FF01580C
	v_mul_f32_dpp v209, v12, v209 row_newbcast:9 row_mask:0xf bank_mask:0xf// 00000000604C: 0BA3A2FA FF01590C
	v_mul_f32_dpp v210, v12, v210 row_newbcast:10 row_mask:0xf bank_mask:0xf// 000000006054: 0BA5A4FA FF015A0C
	v_mul_f32_dpp v211, v12, v211 row_newbcast:11 row_mask:0xf bank_mask:0xf// 00000000605C: 0BA7A6FA FF015B0C
	v_mul_f32_e32 v212, v23, v212                              // 000000006064: 0BA9A917
	v_mul_f32_e32 v213, v23, v213                              // 000000006068: 0BABAB17
	v_mul_f32_e32 v214, v23, v214                              // 00000000606C: 0BADAD17
	v_mul_f32_e32 v215, v23, v215                              // 000000006070: 0BAFAF17
	v_mul_f32_dpp v212, v12, v212 row_newbcast:8 row_mask:0xf bank_mask:0xf// 000000006074: 0BA9A8FA FF01580C
	v_mul_f32_dpp v213, v12, v213 row_newbcast:9 row_mask:0xf bank_mask:0xf// 00000000607C: 0BABAAFA FF01590C
	v_mul_f32_dpp v214, v12, v214 row_newbcast:10 row_mask:0xf bank_mask:0xf// 000000006084: 0BADACFA FF015A0C
	v_mul_f32_dpp v215, v12, v215 row_newbcast:11 row_mask:0xf bank_mask:0xf// 00000000608C: 0BAFAEFA FF015B0C
	v_mul_f32_e32 v216, v22, v216                              // 000000006094: 0BB1B116
	v_mul_f32_e32 v217, v22, v217                              // 000000006098: 0BB3B316
	v_mul_f32_e32 v218, v22, v218                              // 00000000609C: 0BB5B516
	v_mul_f32_e32 v219, v22, v219                              // 0000000060A0: 0BB7B716
	v_mul_f32_dpp v216, v12, v216 row_newbcast:12 row_mask:0xf bank_mask:0xf// 0000000060A4: 0BB1B0FA FF015C0C
	v_mul_f32_dpp v217, v12, v217 row_newbcast:13 row_mask:0xf bank_mask:0xf// 0000000060AC: 0BB3B2FA FF015D0C
	v_mul_f32_dpp v218, v12, v218 row_newbcast:14 row_mask:0xf bank_mask:0xf// 0000000060B4: 0BB5B4FA FF015E0C
	v_mul_f32_dpp v219, v12, v219 row_newbcast:15 row_mask:0xf bank_mask:0xf// 0000000060BC: 0BB7B6FA FF015F0C
	v_mul_f32_e32 v220, v23, v220                              // 0000000060C4: 0BB9B917
	v_mul_f32_e32 v221, v23, v221                              // 0000000060C8: 0BBBBB17
	v_mul_f32_e32 v222, v23, v222                              // 0000000060CC: 0BBDBD17
	v_mul_f32_e32 v223, v23, v223                              // 0000000060D0: 0BBFBF17
	v_mul_f32_dpp v220, v12, v220 row_newbcast:12 row_mask:0xf bank_mask:0xf// 0000000060D4: 0BB9B8FA FF015C0C
	v_mul_f32_dpp v221, v12, v221 row_newbcast:13 row_mask:0xf bank_mask:0xf// 0000000060DC: 0BBBBAFA FF015D0C
	v_mul_f32_dpp v222, v12, v222 row_newbcast:14 row_mask:0xf bank_mask:0xf// 0000000060E4: 0BBDBCFA FF015E0C
	v_mul_f32_dpp v223, v12, v223 row_newbcast:15 row_mask:0xf bank_mask:0xf// 0000000060EC: 0BBFBEFA FF015F0C
	v_cmp_u_f32_e64 s[48:49], v192, v192                       // 0000000060F4: D0480030 000381C0
	v_add3_u32 v40, v192, v43, 1                               // 0000000060FC: D1FF0028 020657C0
	v_cndmask_b32_e64 v46, v40, v42, s[48:49]                  // 000000006104: D100002E 00C25528
	v_cmp_u_f32_e64 s[48:49], v193, v193                       // 00000000610C: D0480030 000383C1
	v_add3_u32 v40, v193, v43, 1                               // 000000006114: D1FF0028 020657C1
	v_cndmask_b32_e64 v47, v40, v42, s[48:49]                  // 00000000611C: D100002F 00C25528
	v_perm_b32 v192, v47, v46, s52                             // 000000006124: D1ED00C0 00D25D2F
	v_cmp_u_f32_e64 s[48:49], v194, v194                       // 00000000612C: D0480030 000385C2
	v_add3_u32 v40, v194, v43, 1                               // 000000006134: D1FF0028 020657C2
	v_cndmask_b32_e64 v46, v40, v42, s[48:49]                  // 00000000613C: D100002E 00C25528
	v_cmp_u_f32_e64 s[48:49], v195, v195                       // 000000006144: D0480030 000387C3
	v_add3_u32 v40, v195, v43, 1                               // 00000000614C: D1FF0028 020657C3
	v_cndmask_b32_e64 v47, v40, v42, s[48:49]                  // 000000006154: D100002F 00C25528
	v_perm_b32 v193, v47, v46, s52                             // 00000000615C: D1ED00C1 00D25D2F
	v_cmp_u_f32_e64 s[48:49], v196, v196                       // 000000006164: D0480030 000389C4
	v_add3_u32 v40, v196, v43, 1                               // 00000000616C: D1FF0028 020657C4
	v_cndmask_b32_e64 v46, v40, v42, s[48:49]                  // 000000006174: D100002E 00C25528
	v_cmp_u_f32_e64 s[48:49], v197, v197                       // 00000000617C: D0480030 00038BC5
	v_add3_u32 v40, v197, v43, 1                               // 000000006184: D1FF0028 020657C5
	v_cndmask_b32_e64 v47, v40, v42, s[48:49]                  // 00000000618C: D100002F 00C25528
	v_perm_b32 v194, v47, v46, s52                             // 000000006194: D1ED00C2 00D25D2F
	v_cmp_u_f32_e64 s[48:49], v198, v198                       // 00000000619C: D0480030 00038DC6
	v_add3_u32 v40, v198, v43, 1                               // 0000000061A4: D1FF0028 020657C6
	v_cndmask_b32_e64 v46, v40, v42, s[48:49]                  // 0000000061AC: D100002E 00C25528
	v_cmp_u_f32_e64 s[48:49], v199, v199                       // 0000000061B4: D0480030 00038FC7
	v_add3_u32 v40, v199, v43, 1                               // 0000000061BC: D1FF0028 020657C7
	v_cndmask_b32_e64 v47, v40, v42, s[48:49]                  // 0000000061C4: D100002F 00C25528
	v_perm_b32 v195, v47, v46, s52                             // 0000000061CC: D1ED00C3 00D25D2F
	v_cmp_u_f32_e64 s[48:49], v200, v200                       // 0000000061D4: D0480030 000391C8
	v_add3_u32 v40, v200, v43, 1                               // 0000000061DC: D1FF0028 020657C8
	v_cndmask_b32_e64 v46, v40, v42, s[48:49]                  // 0000000061E4: D100002E 00C25528
	v_cmp_u_f32_e64 s[48:49], v201, v201                       // 0000000061EC: D0480030 000393C9
	v_add3_u32 v40, v201, v43, 1                               // 0000000061F4: D1FF0028 020657C9
	v_cndmask_b32_e64 v47, v40, v42, s[48:49]                  // 0000000061FC: D100002F 00C25528
	v_perm_b32 v196, v47, v46, s52                             // 000000006204: D1ED00C4 00D25D2F
	v_cmp_u_f32_e64 s[48:49], v202, v202                       // 00000000620C: D0480030 000395CA
	v_add3_u32 v40, v202, v43, 1                               // 000000006214: D1FF0028 020657CA
	v_cndmask_b32_e64 v46, v40, v42, s[48:49]                  // 00000000621C: D100002E 00C25528
	v_cmp_u_f32_e64 s[48:49], v203, v203                       // 000000006224: D0480030 000397CB
	v_add3_u32 v40, v203, v43, 1                               // 00000000622C: D1FF0028 020657CB
	v_cndmask_b32_e64 v47, v40, v42, s[48:49]                  // 000000006234: D100002F 00C25528
	v_perm_b32 v197, v47, v46, s52                             // 00000000623C: D1ED00C5 00D25D2F
	v_cmp_u_f32_e64 s[48:49], v204, v204                       // 000000006244: D0480030 000399CC
	v_add3_u32 v40, v204, v43, 1                               // 00000000624C: D1FF0028 020657CC
	v_cndmask_b32_e64 v46, v40, v42, s[48:49]                  // 000000006254: D100002E 00C25528
	v_cmp_u_f32_e64 s[48:49], v205, v205                       // 00000000625C: D0480030 00039BCD
	v_add3_u32 v40, v205, v43, 1                               // 000000006264: D1FF0028 020657CD
	v_cndmask_b32_e64 v47, v40, v42, s[48:49]                  // 00000000626C: D100002F 00C25528
	v_perm_b32 v198, v47, v46, s52                             // 000000006274: D1ED00C6 00D25D2F
	v_cmp_u_f32_e64 s[48:49], v206, v206                       // 00000000627C: D0480030 00039DCE
	v_add3_u32 v40, v206, v43, 1                               // 000000006284: D1FF0028 020657CE
	v_cndmask_b32_e64 v46, v40, v42, s[48:49]                  // 00000000628C: D100002E 00C25528
	v_cmp_u_f32_e64 s[48:49], v207, v207                       // 000000006294: D0480030 00039FCF
	v_add3_u32 v40, v207, v43, 1                               // 00000000629C: D1FF0028 020657CF
	v_cndmask_b32_e64 v47, v40, v42, s[48:49]                  // 0000000062A4: D100002F 00C25528
	v_perm_b32 v199, v47, v46, s52                             // 0000000062AC: D1ED00C7 00D25D2F
	v_cmp_u_f32_e64 s[48:49], v208, v208                       // 0000000062B4: D0480030 0003A1D0
	v_add3_u32 v40, v208, v43, 1                               // 0000000062BC: D1FF0028 020657D0
	v_cndmask_b32_e64 v46, v40, v42, s[48:49]                  // 0000000062C4: D100002E 00C25528
	v_cmp_u_f32_e64 s[48:49], v209, v209                       // 0000000062CC: D0480030 0003A3D1
	v_add3_u32 v40, v209, v43, 1                               // 0000000062D4: D1FF0028 020657D1
	v_cndmask_b32_e64 v47, v40, v42, s[48:49]                  // 0000000062DC: D100002F 00C25528
	v_perm_b32 v200, v47, v46, s52                             // 0000000062E4: D1ED00C8 00D25D2F
	v_cmp_u_f32_e64 s[48:49], v210, v210                       // 0000000062EC: D0480030 0003A5D2
	v_add3_u32 v40, v210, v43, 1                               // 0000000062F4: D1FF0028 020657D2
	v_cndmask_b32_e64 v46, v40, v42, s[48:49]                  // 0000000062FC: D100002E 00C25528
	v_cmp_u_f32_e64 s[48:49], v211, v211                       // 000000006304: D0480030 0003A7D3
	v_add3_u32 v40, v211, v43, 1                               // 00000000630C: D1FF0028 020657D3
	v_cndmask_b32_e64 v47, v40, v42, s[48:49]                  // 000000006314: D100002F 00C25528
	v_perm_b32 v201, v47, v46, s52                             // 00000000631C: D1ED00C9 00D25D2F
	v_cmp_u_f32_e64 s[48:49], v212, v212                       // 000000006324: D0480030 0003A9D4
	v_add3_u32 v40, v212, v43, 1                               // 00000000632C: D1FF0028 020657D4
	v_cndmask_b32_e64 v46, v40, v42, s[48:49]                  // 000000006334: D100002E 00C25528
	v_cmp_u_f32_e64 s[48:49], v213, v213                       // 00000000633C: D0480030 0003ABD5
	v_add3_u32 v40, v213, v43, 1                               // 000000006344: D1FF0028 020657D5
	v_cndmask_b32_e64 v47, v40, v42, s[48:49]                  // 00000000634C: D100002F 00C25528
	v_perm_b32 v202, v47, v46, s52                             // 000000006354: D1ED00CA 00D25D2F
	v_cmp_u_f32_e64 s[48:49], v214, v214                       // 00000000635C: D0480030 0003ADD6
	v_add3_u32 v40, v214, v43, 1                               // 000000006364: D1FF0028 020657D6
	v_cndmask_b32_e64 v46, v40, v42, s[48:49]                  // 00000000636C: D100002E 00C25528
	v_cmp_u_f32_e64 s[48:49], v215, v215                       // 000000006374: D0480030 0003AFD7
	v_add3_u32 v40, v215, v43, 1                               // 00000000637C: D1FF0028 020657D7
	v_cndmask_b32_e64 v47, v40, v42, s[48:49]                  // 000000006384: D100002F 00C25528
	v_perm_b32 v203, v47, v46, s52                             // 00000000638C: D1ED00CB 00D25D2F
	v_cmp_u_f32_e64 s[48:49], v216, v216                       // 000000006394: D0480030 0003B1D8
	v_add3_u32 v40, v216, v43, 1                               // 00000000639C: D1FF0028 020657D8
	v_cndmask_b32_e64 v46, v40, v42, s[48:49]                  // 0000000063A4: D100002E 00C25528
	v_cmp_u_f32_e64 s[48:49], v217, v217                       // 0000000063AC: D0480030 0003B3D9
	v_add3_u32 v40, v217, v43, 1                               // 0000000063B4: D1FF0028 020657D9
	v_cndmask_b32_e64 v47, v40, v42, s[48:49]                  // 0000000063BC: D100002F 00C25528
	v_perm_b32 v204, v47, v46, s52                             // 0000000063C4: D1ED00CC 00D25D2F
	v_cmp_u_f32_e64 s[48:49], v218, v218                       // 0000000063CC: D0480030 0003B5DA
	v_add3_u32 v40, v218, v43, 1                               // 0000000063D4: D1FF0028 020657DA
	v_cndmask_b32_e64 v46, v40, v42, s[48:49]                  // 0000000063DC: D100002E 00C25528
	v_cmp_u_f32_e64 s[48:49], v219, v219                       // 0000000063E4: D0480030 0003B7DB
	v_add3_u32 v40, v219, v43, 1                               // 0000000063EC: D1FF0028 020657DB
	v_cndmask_b32_e64 v47, v40, v42, s[48:49]                  // 0000000063F4: D100002F 00C25528
	v_perm_b32 v205, v47, v46, s52                             // 0000000063FC: D1ED00CD 00D25D2F
	v_cmp_u_f32_e64 s[48:49], v220, v220                       // 000000006404: D0480030 0003B9DC
	v_add3_u32 v40, v220, v43, 1                               // 00000000640C: D1FF0028 020657DC
	v_cndmask_b32_e64 v46, v40, v42, s[48:49]                  // 000000006414: D100002E 00C25528
	v_cmp_u_f32_e64 s[48:49], v221, v221                       // 00000000641C: D0480030 0003BBDD
	v_add3_u32 v40, v221, v43, 1                               // 000000006424: D1FF0028 020657DD
	v_cndmask_b32_e64 v47, v40, v42, s[48:49]                  // 00000000642C: D100002F 00C25528
	v_perm_b32 v206, v47, v46, s52                             // 000000006434: D1ED00CE 00D25D2F
	v_cmp_u_f32_e64 s[48:49], v222, v222                       // 00000000643C: D0480030 0003BDDE
	v_add3_u32 v40, v222, v43, 1                               // 000000006444: D1FF0028 020657DE
	v_cndmask_b32_e64 v46, v40, v42, s[48:49]                  // 00000000644C: D100002E 00C25528
	v_cmp_u_f32_e64 s[48:49], v223, v223                       // 000000006454: D0480030 0003BFDF
	v_add3_u32 v40, v223, v43, 1                               // 00000000645C: D1FF0028 020657DF
	v_cndmask_b32_e64 v47, v40, v42, s[48:49]                  // 000000006464: D100002F 00C25528
	v_perm_b32 v207, v47, v46, s52                             // 00000000646C: D1ED00CF 00D25D2F
	ds_write_b64 v3, v[192:193] offset:26880                   // 000000006474: D89A6900 0000C003
	ds_write_b64 v3, v[194:195] offset:35584                   // 00000000647C: D89A8B00 0000C203
	ds_write_b64 v3, v[196:197] offset:29056                   // 000000006484: D89A7180 0000C403
	ds_write_b64 v3, v[198:199] offset:37760                   // 00000000648C: D89A9380 0000C603
	ds_write_b64 v3, v[200:201] offset:31232                   // 000000006494: D89A7A00 0000C803
	ds_write_b64 v3, v[202:203] offset:39936                   // 00000000649C: D89A9C00 0000CA03
	ds_write_b64 v3, v[204:205] offset:33408                   // 0000000064A4: D89A8280 0000CC03
	ds_write_b64 v3, v[206:207] offset:42112                   // 0000000064AC: D89AA480 0000CE03
	s_waitcnt lgkmcnt(0)                                       // 0000000064B4: BF8CC07F
	s_barrier                                                  // 0000000064B8: BF8A0000
	ds_read_b32 v64, v4 offset:26880                           // 0000000064BC: D86C6900 40000004
	ds_read_b32 v65, v4 offset:31232                           // 0000000064C4: D86C7A00 41000004
	ds_read_b32 v66, v4 offset:26912                           // 0000000064CC: D86C6920 42000004
	ds_read_b32 v67, v4 offset:31264                           // 0000000064D4: D86C7A20 43000004
	ds_read_b32 v68, v4 offset:26944                           // 0000000064DC: D86C6940 44000004
	ds_read_b32 v69, v4 offset:31296                           // 0000000064E4: D86C7A40 45000004
	ds_read_b32 v70, v4 offset:26976                           // 0000000064EC: D86C6960 46000004
	ds_read_b32 v71, v4 offset:31328                           // 0000000064F4: D86C7A60 47000004
	ds_read_b32 v72, v4 offset:35584                           // 0000000064FC: D86C8B00 48000004
	ds_read_b32 v73, v4 offset:39936                           // 000000006504: D86C9C00 49000004
	ds_read_b32 v74, v4 offset:35616                           // 00000000650C: D86C8B20 4A000004
	ds_read_b32 v75, v4 offset:39968                           // 000000006514: D86C9C20 4B000004
	ds_read_b32 v76, v4 offset:35648                           // 00000000651C: D86C8B40 4C000004
	ds_read_b32 v77, v4 offset:40000                           // 000000006524: D86C9C40 4D000004
	ds_read_b32 v78, v4 offset:35680                           // 00000000652C: D86C8B60 4E000004
	ds_read_b32 v79, v4 offset:40032                           // 000000006534: D86C9C60 4F000004
	s_waitcnt lgkmcnt(0)                                       // 00000000653C: BF8CC07F
	s_mov_b64 exec, s[20:21]                                   // 000000006540: BEFE0114
	global_atomic_pk_add_bf16 v80, v64, s[8:9]                 // 000000006544: DD488000 00084050
	s_mov_b64 exec, s[36:37]                                   // 00000000654C: BEFE0124
	s_mov_b64 exec, s[20:21]                                   // 000000006550: BEFE0114
	global_atomic_pk_add_bf16 v80, v65, s[8:9] offset:256      // 000000006554: DD488100 00084150
	s_mov_b64 exec, s[36:37]                                   // 00000000655C: BEFE0124
	s_mov_b64 exec, s[22:23]                                   // 000000006560: BEFE0116
	global_atomic_pk_add_bf16 v82, v66, s[8:9]                 // 000000006564: DD488000 00084252
	s_mov_b64 exec, s[36:37]                                   // 00000000656C: BEFE0124
	s_mov_b64 exec, s[22:23]                                   // 000000006570: BEFE0116
	global_atomic_pk_add_bf16 v82, v67, s[8:9] offset:256      // 000000006574: DD488100 00084352
	s_mov_b64 exec, s[36:37]                                   // 00000000657C: BEFE0124
	s_mov_b64 exec, s[24:25]                                   // 000000006580: BEFE0118
	global_atomic_pk_add_bf16 v84, v68, s[8:9]                 // 000000006584: DD488000 00084454
	s_mov_b64 exec, s[36:37]                                   // 00000000658C: BEFE0124
	s_mov_b64 exec, s[24:25]                                   // 000000006590: BEFE0118
	global_atomic_pk_add_bf16 v84, v69, s[8:9] offset:256      // 000000006594: DD488100 00084554
	s_mov_b64 exec, s[36:37]                                   // 00000000659C: BEFE0124
	s_mov_b64 exec, s[26:27]                                   // 0000000065A0: BEFE011A
	global_atomic_pk_add_bf16 v86, v70, s[8:9]                 // 0000000065A4: DD488000 00084656
	s_mov_b64 exec, s[36:37]                                   // 0000000065AC: BEFE0124
	s_mov_b64 exec, s[26:27]                                   // 0000000065B0: BEFE011A
	global_atomic_pk_add_bf16 v86, v71, s[8:9] offset:256      // 0000000065B4: DD488100 00084756
	s_mov_b64 exec, s[36:37]                                   // 0000000065BC: BEFE0124
	s_mov_b64 exec, s[28:29]                                   // 0000000065C0: BEFE011C
	global_atomic_pk_add_bf16 v88, v72, s[8:9]                 // 0000000065C4: DD488000 00084858
	s_mov_b64 exec, s[36:37]                                   // 0000000065CC: BEFE0124
	s_mov_b64 exec, s[28:29]                                   // 0000000065D0: BEFE011C
	global_atomic_pk_add_bf16 v88, v73, s[8:9] offset:256      // 0000000065D4: DD488100 00084958
	s_mov_b64 exec, s[36:37]                                   // 0000000065DC: BEFE0124
	s_mov_b64 exec, s[30:31]                                   // 0000000065E0: BEFE011E
	global_atomic_pk_add_bf16 v90, v74, s[8:9]                 // 0000000065E4: DD488000 00084A5A
	s_mov_b64 exec, s[36:37]                                   // 0000000065EC: BEFE0124
	s_mov_b64 exec, s[30:31]                                   // 0000000065F0: BEFE011E
	global_atomic_pk_add_bf16 v90, v75, s[8:9] offset:256      // 0000000065F4: DD488100 00084B5A
	s_mov_b64 exec, s[36:37]                                   // 0000000065FC: BEFE0124
	s_mov_b64 exec, s[32:33]                                   // 000000006600: BEFE0120
	global_atomic_pk_add_bf16 v92, v76, s[8:9]                 // 000000006604: DD488000 00084C5C
	s_mov_b64 exec, s[36:37]                                   // 00000000660C: BEFE0124
	s_mov_b64 exec, s[32:33]                                   // 000000006610: BEFE0120
	global_atomic_pk_add_bf16 v92, v77, s[8:9] offset:256      // 000000006614: DD488100 00084D5C
	s_mov_b64 exec, s[36:37]                                   // 00000000661C: BEFE0124
	s_mov_b64 exec, s[34:35]                                   // 000000006620: BEFE0122
	global_atomic_pk_add_bf16 v94, v78, s[8:9]                 // 000000006624: DD488000 00084E5E
	s_mov_b64 exec, s[36:37]                                   // 00000000662C: BEFE0124
	s_mov_b64 exec, s[34:35]                                   // 000000006630: BEFE0122
	global_atomic_pk_add_bf16 v94, v79, s[8:9] offset:256      // 000000006634: DD488100 00084F5E
	s_mov_b64 exec, s[36:37]                                   // 00000000663C: BEFE0124
	s_add_u32 s8, s59, s8                                      // 000000006640: 8008083B
	s_addc_u32 s9, 0, s9                                       // 000000006644: 82090980
	s_addk_i32 s80, 0x100                                      // 000000006648: B7500100
	s_cmp_lt_i32 s80, s81                                      // 00000000664C: BF045150
	s_cbranch_scc0 label_0E16                                  // 000000006650: BF840001
	s_branch label_0937                                        // 000000006654: BF82FB21

0000000000006658 <label_0E16>:
	s_nop 0                                                    // 000000006658: BF800000
	s_nop 0                                                    // 00000000665C: BF800000
	s_branch label_19EB                                        // 000000006660: BF820BD2

0000000000006664 <label_0E19>:
	s_waitcnt vmcnt(8) lgkmcnt(0)                              // 000000006664: BF8C0078
	s_barrier                                                  // 000000006668: BF8A0000
	v_mfma_f32_16x16x32_fp8_fp8 v[128:131], a[0:1], v[160:161], v[128:131]// 00000000666C: D3F30080 0E034100
	buffer_load_dwordx4 a[64:67], v32, s[92:95], 0 offen       // 000000006674: E05C1000 80974020
	v_mfma_f32_16x16x32_fp8_fp8 v[128:131], a[2:3], v[162:163], v[128:131]// 00000000667C: D3F30080 0E034502
	v_mfma_f32_16x16x32_fp8_fp8 v[128:131], a[4:5], v[164:165], v[128:131]// 000000006684: D3F30080 0E034904
	buffer_load_dword v24, s[20:23], 0 offen lds               // 00000000668C: E0511000 80050018
	s_add_u32 m0, 0x100, s51                                   // 000000006694: 807C33FF 00000100
	v_mfma_f32_16x16x32_fp8_fp8 v[128:131], a[6:7], v[166:167], v[128:131]// 00000000669C: D3F30080 0E034D06
	v_mfma_f32_16x16x32_fp8_fp8 v[128:131], a[8:9], v[168:169], v[128:131]// 0000000066A4: D3F30080 0E035108
	buffer_load_dwordx4 a[68:71], v32, s[92:95], 0 offen offset:1024// 0000000066AC: E05C1400 80974420
	v_mfma_f32_16x16x32_fp8_fp8 v[128:131], a[10:11], v[170:171], v[128:131]// 0000000066B4: D3F30080 0E03550A
	v_mfma_f32_16x16x32_fp8_fp8 v[128:131], a[12:13], v[172:173], v[128:131]// 0000000066BC: D3F30080 0E03590C
	buffer_load_dword v25, s[20:23], 0 offen lds               // 0000000066C4: E0511000 80050019
	s_add_u32 m0, 0x200, s51                                   // 0000000066CC: 807C33FF 00000200
	v_mfma_f32_16x16x32_fp8_fp8 v[128:131], a[14:15], v[174:175], v[128:131]// 0000000066D4: D3F30080 0E035D0E
	v_mfma_f32_16x16x32_fp8_fp8 v[132:135], a[0:1], v[176:177], v[132:135]// 0000000066DC: D3F30084 0E136100
	buffer_load_dwordx4 a[72:75], v32, s[92:95], 0 offen offset:2048// 0000000066E4: E05C1800 80974820
	v_mfma_f32_16x16x32_fp8_fp8 v[132:135], a[2:3], v[178:179], v[132:135]// 0000000066EC: D3F30084 0E136502
	v_mfma_f32_16x16x32_fp8_fp8 v[132:135], a[4:5], v[180:181], v[132:135]// 0000000066F4: D3F30084 0E136904
	buffer_load_dword v26, s[20:23], 0 offen lds               // 0000000066FC: E0511000 8005001A
	s_add_u32 m0, 0x300, s51                                   // 000000006704: 807C33FF 00000300
	v_mfma_f32_16x16x32_fp8_fp8 v[132:135], a[6:7], v[182:183], v[132:135]// 00000000670C: D3F30084 0E136D06
	v_mfma_f32_16x16x32_fp8_fp8 v[132:135], a[8:9], v[184:185], v[132:135]// 000000006714: D3F30084 0E137108
	buffer_load_dwordx4 a[76:79], v32, s[92:95], 0 offen offset:3072// 00000000671C: E05C1C00 80974C20
	v_mfma_f32_16x16x32_fp8_fp8 v[132:135], a[10:11], v[186:187], v[132:135]// 000000006724: D3F30084 0E13750A
	v_mfma_f32_16x16x32_fp8_fp8 v[132:135], a[12:13], v[188:189], v[132:135]// 00000000672C: D3F30084 0E13790C
	buffer_load_dword v27, s[20:23], 0 offen lds               // 000000006734: E0511000 8005001B
	s_add_u32 m0, 0x400, s51                                   // 00000000673C: 807C33FF 00000400
	v_mfma_f32_16x16x32_fp8_fp8 v[132:135], a[14:15], v[190:191], v[132:135]// 000000006744: D3F30084 0E137D0E
	v_mfma_f32_16x16x32_fp8_fp8 v[136:139], a[16:17], v[160:161], v[136:139]// 00000000674C: D3F30088 0E234110
	buffer_load_dwordx4 a[80:83], v33, s[92:95], 0 offen       // 000000006754: E05C1000 80975021
	v_mfma_f32_16x16x32_fp8_fp8 v[136:139], a[18:19], v[162:163], v[136:139]// 00000000675C: D3F30088 0E234512
	v_mfma_f32_16x16x32_fp8_fp8 v[136:139], a[20:21], v[164:165], v[136:139]// 000000006764: D3F30088 0E234914
	buffer_load_dword v28, s[20:23], 0 offen lds               // 00000000676C: E0511000 8005001C
	s_add_u32 m0, 0x500, s51                                   // 000000006774: 807C33FF 00000500
	v_mfma_f32_16x16x32_fp8_fp8 v[136:139], a[22:23], v[166:167], v[136:139]// 00000000677C: D3F30088 0E234D16
	v_mfma_f32_16x16x32_fp8_fp8 v[136:139], a[24:25], v[168:169], v[136:139]// 000000006784: D3F30088 0E235118
	buffer_load_dwordx4 a[84:87], v33, s[92:95], 0 offen offset:1024// 00000000678C: E05C1400 80975421
	v_mfma_f32_16x16x32_fp8_fp8 v[136:139], a[26:27], v[170:171], v[136:139]// 000000006794: D3F30088 0E23551A
	v_mfma_f32_16x16x32_fp8_fp8 v[136:139], a[28:29], v[172:173], v[136:139]// 00000000679C: D3F30088 0E23591C
	buffer_load_dword v29, s[20:23], 0 offen lds               // 0000000067A4: E0511000 8005001D
	s_add_u32 m0, 0x600, s51                                   // 0000000067AC: 807C33FF 00000600
	v_mfma_f32_16x16x32_fp8_fp8 v[136:139], a[30:31], v[174:175], v[136:139]// 0000000067B4: D3F30088 0E235D1E
	v_mfma_f32_16x16x32_fp8_fp8 v[140:143], a[16:17], v[176:177], v[140:143]// 0000000067BC: D3F3008C 0E336110
	buffer_load_dwordx4 a[88:91], v33, s[92:95], 0 offen offset:2048// 0000000067C4: E05C1800 80975821
	v_mfma_f32_16x16x32_fp8_fp8 v[140:143], a[18:19], v[178:179], v[140:143]// 0000000067CC: D3F3008C 0E336512
	v_mfma_f32_16x16x32_fp8_fp8 v[140:143], a[20:21], v[180:181], v[140:143]// 0000000067D4: D3F3008C 0E336914
	buffer_load_dword v30, s[20:23], 0 offen lds               // 0000000067DC: E0511000 8005001E
	s_add_u32 m0, 0x700, s51                                   // 0000000067E4: 807C33FF 00000700
	v_mfma_f32_16x16x32_fp8_fp8 v[140:143], a[22:23], v[182:183], v[140:143]// 0000000067EC: D3F3008C 0E336D16
	v_mfma_f32_16x16x32_fp8_fp8 v[140:143], a[24:25], v[184:185], v[140:143]// 0000000067F4: D3F3008C 0E337118
	buffer_load_dwordx4 a[92:95], v33, s[92:95], 0 offen offset:3072// 0000000067FC: E05C1C00 80975C21
	v_mfma_f32_16x16x32_fp8_fp8 v[140:143], a[26:27], v[186:187], v[140:143]// 000000006804: D3F3008C 0E33751A
	v_mfma_f32_16x16x32_fp8_fp8 v[140:143], a[28:29], v[188:189], v[140:143]// 00000000680C: D3F3008C 0E33791C
	buffer_load_dword v31, s[20:23], 0 offen lds               // 000000006814: E0511000 8005001F
	s_add_u32 m0, 0, s50                                       // 00000000681C: 807C3280
	v_mfma_f32_16x16x32_fp8_fp8 v[140:143], a[30:31], v[190:191], v[140:143]// 000000006820: D3F3008C 0E337D1E
	s_waitcnt vmcnt(20)                                        // 000000006828: BF8C4F74
	v_mfma_f32_16x16x32_fp8_fp8 v[144:147], a[32:33], v[160:161], v[144:147]// 00000000682C: D3F30090 0E434120
	buffer_load_dwordx4 a[96:99], v34, s[92:95], 0 offen       // 000000006834: E05C1000 80976022
	v_mfma_f32_16x16x32_fp8_fp8 v[144:147], a[34:35], v[162:163], v[144:147]// 00000000683C: D3F30090 0E434522
	v_mfma_f32_16x16x32_fp8_fp8 v[144:147], a[36:37], v[164:165], v[144:147]// 000000006844: D3F30090 0E434924
	v_mfma_f32_16x16x32_fp8_fp8 v[144:147], a[38:39], v[166:167], v[144:147]// 00000000684C: D3F30090 0E434D26
	v_mfma_f32_16x16x32_fp8_fp8 v[144:147], a[40:41], v[168:169], v[144:147]// 000000006854: D3F30090 0E435128
	buffer_load_dwordx4 a[100:103], v34, s[92:95], 0 offen offset:1024// 00000000685C: E05C1400 80976422
	v_mfma_f32_16x16x32_fp8_fp8 v[144:147], a[42:43], v[170:171], v[144:147]// 000000006864: D3F30090 0E43552A
	v_mfma_f32_16x16x32_fp8_fp8 v[144:147], a[44:45], v[172:173], v[144:147]// 00000000686C: D3F30090 0E43592C
	v_mfma_f32_16x16x32_fp8_fp8 v[144:147], a[46:47], v[174:175], v[144:147]// 000000006874: D3F30090 0E435D2E
	v_mfma_f32_16x16x32_fp8_fp8 v[148:151], a[32:33], v[176:177], v[148:151]// 00000000687C: D3F30094 0E536120
	buffer_load_dwordx4 a[104:107], v34, s[92:95], 0 offen offset:2048// 000000006884: E05C1800 80976822
	v_mfma_f32_16x16x32_fp8_fp8 v[148:151], a[34:35], v[178:179], v[148:151]// 00000000688C: D3F30094 0E536522
	v_mfma_f32_16x16x32_fp8_fp8 v[148:151], a[36:37], v[180:181], v[148:151]// 000000006894: D3F30094 0E536924
	v_mfma_f32_16x16x32_fp8_fp8 v[148:151], a[38:39], v[182:183], v[148:151]// 00000000689C: D3F30094 0E536D26
	v_mfma_f32_16x16x32_fp8_fp8 v[148:151], a[40:41], v[184:185], v[148:151]// 0000000068A4: D3F30094 0E537128
	buffer_load_dwordx4 a[108:111], v34, s[92:95], 0 offen offset:3072// 0000000068AC: E05C1C00 80976C22
	v_mfma_f32_16x16x32_fp8_fp8 v[148:151], a[42:43], v[186:187], v[148:151]// 0000000068B4: D3F30094 0E53752A
	v_mfma_f32_16x16x32_fp8_fp8 v[148:151], a[44:45], v[188:189], v[148:151]// 0000000068BC: D3F30094 0E53792C
	v_mfma_f32_16x16x32_fp8_fp8 v[148:151], a[46:47], v[190:191], v[148:151]// 0000000068C4: D3F30094 0E537D2E
	s_waitcnt vmcnt(20)                                        // 0000000068CC: BF8C4F74
	v_mfma_f32_16x16x32_fp8_fp8 v[152:155], a[48:49], v[160:161], v[152:155]// 0000000068D0: D3F30098 0E634130
	buffer_load_dwordx4 a[112:115], v35, s[92:95], 0 offen     // 0000000068D8: E05C1000 80977023
	v_mfma_f32_16x16x32_fp8_fp8 v[152:155], a[50:51], v[162:163], v[152:155]// 0000000068E0: D3F30098 0E634532
	v_mfma_f32_16x16x32_fp8_fp8 v[152:155], a[52:53], v[164:165], v[152:155]// 0000000068E8: D3F30098 0E634934
	v_mfma_f32_16x16x32_fp8_fp8 v[152:155], a[54:55], v[166:167], v[152:155]// 0000000068F0: D3F30098 0E634D36
	v_mfma_f32_16x16x32_fp8_fp8 v[152:155], a[56:57], v[168:169], v[152:155]// 0000000068F8: D3F30098 0E635138
	buffer_load_dwordx4 a[116:119], v35, s[92:95], 0 offen offset:1024// 000000006900: E05C1400 80977423
	v_mfma_f32_16x16x32_fp8_fp8 v[152:155], a[58:59], v[170:171], v[152:155]// 000000006908: D3F30098 0E63553A
	v_mfma_f32_16x16x32_fp8_fp8 v[152:155], a[60:61], v[172:173], v[152:155]// 000000006910: D3F30098 0E63593C
	v_mfma_f32_16x16x32_fp8_fp8 v[152:155], a[62:63], v[174:175], v[152:155]// 000000006918: D3F30098 0E635D3E
	v_mfma_f32_16x16x32_fp8_fp8 v[156:159], a[48:49], v[176:177], v[156:159]// 000000006920: D3F3009C 0E736130
	buffer_load_dwordx4 a[120:123], v35, s[92:95], 0 offen offset:2048// 000000006928: E05C1800 80977823
	v_mfma_f32_16x16x32_fp8_fp8 v[156:159], a[50:51], v[178:179], v[156:159]// 000000006930: D3F3009C 0E736532
	v_mfma_f32_16x16x32_fp8_fp8 v[156:159], a[52:53], v[180:181], v[156:159]// 000000006938: D3F3009C 0E736934
	v_mfma_f32_16x16x32_fp8_fp8 v[156:159], a[54:55], v[182:183], v[156:159]// 000000006940: D3F3009C 0E736D36
	v_mfma_f32_16x16x32_fp8_fp8 v[156:159], a[56:57], v[184:185], v[156:159]// 000000006948: D3F3009C 0E737138
	buffer_load_dwordx4 a[124:127], v35, s[92:95], 0 offen offset:3072// 000000006950: E05C1C00 80977C23
	v_mfma_f32_16x16x32_fp8_fp8 v[156:159], a[58:59], v[186:187], v[156:159]// 000000006958: D3F3009C 0E73753A
	v_mfma_f32_16x16x32_fp8_fp8 v[156:159], a[60:61], v[188:189], v[156:159]// 000000006960: D3F3009C 0E73793C
	v_mfma_f32_16x16x32_fp8_fp8 v[156:159], a[62:63], v[190:191], v[156:159]// 000000006968: D3F3009C 0E737D3E
	s_waitcnt vmcnt(8)                                         // 000000006970: BF8C0F78
	s_barrier                                                  // 000000006974: BF8A0000
	v_mfma_f32_16x16x32_fp8_fp8 v[64:67], a[64:65], v[160:161], v[64:67]// 000000006978: D3F30040 0D034140
	buffer_load_dwordx4 a[0:3], v32, s[24:27], 0 offen         // 000000006980: E05C1000 80860020
	v_mfma_f32_16x16x32_fp8_fp8 v[64:67], a[66:67], v[162:163], v[64:67]// 000000006988: D3F30040 0D034542
	v_mfma_f32_16x16x32_fp8_fp8 v[64:67], a[68:69], v[164:165], v[64:67]// 000000006990: D3F30040 0D034944
	v_mfma_f32_16x16x32_fp8_fp8 v[64:67], a[70:71], v[166:167], v[64:67]// 000000006998: D3F30040 0D034D46
	v_mfma_f32_16x16x32_fp8_fp8 v[64:67], a[72:73], v[168:169], v[64:67]// 0000000069A0: D3F30040 0D035148
	buffer_load_dwordx4 a[4:7], v32, s[24:27], 0 offen offset:1024// 0000000069A8: E05C1400 80860420
	v_mfma_f32_16x16x32_fp8_fp8 v[64:67], a[74:75], v[170:171], v[64:67]// 0000000069B0: D3F30040 0D03554A
	v_mfma_f32_16x16x32_fp8_fp8 v[64:67], a[76:77], v[172:173], v[64:67]// 0000000069B8: D3F30040 0D03594C
	v_mfma_f32_16x16x32_fp8_fp8 v[64:67], a[78:79], v[174:175], v[64:67]// 0000000069C0: D3F30040 0D035D4E
	v_mfma_f32_16x16x32_fp8_fp8 v[68:71], a[64:65], v[176:177], v[68:71]// 0000000069C8: D3F30044 0D136140
	buffer_load_dwordx4 a[8:11], v32, s[24:27], 0 offen offset:2048// 0000000069D0: E05C1800 80860820
	v_mfma_f32_16x16x32_fp8_fp8 v[68:71], a[66:67], v[178:179], v[68:71]// 0000000069D8: D3F30044 0D136542
	v_mfma_f32_16x16x32_fp8_fp8 v[68:71], a[68:69], v[180:181], v[68:71]// 0000000069E0: D3F30044 0D136944
	v_mfma_f32_16x16x32_fp8_fp8 v[68:71], a[70:71], v[182:183], v[68:71]// 0000000069E8: D3F30044 0D136D46
	v_mfma_f32_16x16x32_fp8_fp8 v[68:71], a[72:73], v[184:185], v[68:71]// 0000000069F0: D3F30044 0D137148
	buffer_load_dwordx4 a[12:15], v32, s[24:27], 0 offen offset:3072// 0000000069F8: E05C1C00 80860C20
	v_mfma_f32_16x16x32_fp8_fp8 v[68:71], a[74:75], v[186:187], v[68:71]// 000000006A00: D3F30044 0D13754A
	v_mfma_f32_16x16x32_fp8_fp8 v[68:71], a[76:77], v[188:189], v[68:71]// 000000006A08: D3F30044 0D13794C
	v_mfma_f32_16x16x32_fp8_fp8 v[68:71], a[78:79], v[190:191], v[68:71]// 000000006A10: D3F30044 0D137D4E
	v_mfma_f32_16x16x32_fp8_fp8 v[72:75], a[80:81], v[160:161], v[72:75]// 000000006A18: D3F30048 0D234150
	buffer_load_dwordx4 a[16:19], v33, s[24:27], 0 offen       // 000000006A20: E05C1000 80861021
	v_mfma_f32_16x16x32_fp8_fp8 v[72:75], a[82:83], v[162:163], v[72:75]// 000000006A28: D3F30048 0D234552
	v_mfma_f32_16x16x32_fp8_fp8 v[72:75], a[84:85], v[164:165], v[72:75]// 000000006A30: D3F30048 0D234954
	v_mfma_f32_16x16x32_fp8_fp8 v[72:75], a[86:87], v[166:167], v[72:75]// 000000006A38: D3F30048 0D234D56
	v_mfma_f32_16x16x32_fp8_fp8 v[72:75], a[88:89], v[168:169], v[72:75]// 000000006A40: D3F30048 0D235158
	buffer_load_dwordx4 a[20:23], v33, s[24:27], 0 offen offset:1024// 000000006A48: E05C1400 80861421
	v_mfma_f32_16x16x32_fp8_fp8 v[72:75], a[90:91], v[170:171], v[72:75]// 000000006A50: D3F30048 0D23555A
	v_mfma_f32_16x16x32_fp8_fp8 v[72:75], a[92:93], v[172:173], v[72:75]// 000000006A58: D3F30048 0D23595C
	v_mfma_f32_16x16x32_fp8_fp8 v[72:75], a[94:95], v[174:175], v[72:75]// 000000006A60: D3F30048 0D235D5E
	v_mfma_f32_16x16x32_fp8_fp8 v[76:79], a[80:81], v[176:177], v[76:79]// 000000006A68: D3F3004C 0D336150
	buffer_load_dwordx4 a[24:27], v33, s[24:27], 0 offen offset:2048// 000000006A70: E05C1800 80861821
	v_mfma_f32_16x16x32_fp8_fp8 v[76:79], a[82:83], v[178:179], v[76:79]// 000000006A78: D3F3004C 0D336552
	v_mfma_f32_16x16x32_fp8_fp8 v[76:79], a[84:85], v[180:181], v[76:79]// 000000006A80: D3F3004C 0D336954
	v_mfma_f32_16x16x32_fp8_fp8 v[76:79], a[86:87], v[182:183], v[76:79]// 000000006A88: D3F3004C 0D336D56
	v_mfma_f32_16x16x32_fp8_fp8 v[76:79], a[88:89], v[184:185], v[76:79]// 000000006A90: D3F3004C 0D337158
	buffer_load_dwordx4 a[28:31], v33, s[24:27], 0 offen offset:3072// 000000006A98: E05C1C00 80861C21
	v_mfma_f32_16x16x32_fp8_fp8 v[76:79], a[90:91], v[186:187], v[76:79]// 000000006AA0: D3F3004C 0D33755A
	v_mfma_f32_16x16x32_fp8_fp8 v[76:79], a[92:93], v[188:189], v[76:79]// 000000006AA8: D3F3004C 0D33795C
	v_mfma_f32_16x16x32_fp8_fp8 v[76:79], a[94:95], v[190:191], v[76:79]// 000000006AB0: D3F3004C 0D337D5E
	s_waitcnt vmcnt(12)                                        // 000000006AB8: BF8C0F7C
	v_mfma_f32_16x16x32_fp8_fp8 v[80:83], a[96:97], v[160:161], v[80:83]// 000000006ABC: D3F30050 0D434160
	buffer_load_dwordx4 a[32:35], v34, s[24:27], 0 offen       // 000000006AC4: E05C1000 80862022
	v_mfma_f32_16x16x32_fp8_fp8 v[80:83], a[98:99], v[162:163], v[80:83]// 000000006ACC: D3F30050 0D434562
	v_mfma_f32_16x16x32_fp8_fp8 v[80:83], a[100:101], v[164:165], v[80:83]// 000000006AD4: D3F30050 0D434964
	ds_read_b128 v[192:195], v2 offset:8320                    // 000000006ADC: D9FE2080 C0000002
	v_mfma_f32_16x16x32_fp8_fp8 v[80:83], a[102:103], v[166:167], v[80:83]// 000000006AE4: D3F30050 0D434D66
	v_mfma_f32_16x16x32_fp8_fp8 v[80:83], a[104:105], v[168:169], v[80:83]// 000000006AEC: D3F30050 0D435168
	buffer_load_dwordx4 a[36:39], v34, s[24:27], 0 offen offset:1024// 000000006AF4: E05C1400 80862422
	v_mfma_f32_16x16x32_fp8_fp8 v[80:83], a[106:107], v[170:171], v[80:83]// 000000006AFC: D3F30050 0D43556A
	v_mfma_f32_16x16x32_fp8_fp8 v[80:83], a[108:109], v[172:173], v[80:83]// 000000006B04: D3F30050 0D43596C
	ds_read_b128 v[196:199], v2 offset:8384                    // 000000006B0C: D9FE20C0 C4000002
	v_mfma_f32_16x16x32_fp8_fp8 v[80:83], a[110:111], v[174:175], v[80:83]// 000000006B14: D3F30050 0D435D6E
	v_mfma_f32_16x16x32_fp8_fp8 v[84:87], a[96:97], v[176:177], v[84:87]// 000000006B1C: D3F30054 0D536160
	buffer_load_dwordx4 a[40:43], v34, s[24:27], 0 offen offset:2048// 000000006B24: E05C1800 80862822
	v_mfma_f32_16x16x32_fp8_fp8 v[84:87], a[98:99], v[178:179], v[84:87]// 000000006B2C: D3F30054 0D536562
	v_mfma_f32_16x16x32_fp8_fp8 v[84:87], a[100:101], v[180:181], v[84:87]// 000000006B34: D3F30054 0D536964
	ds_read_b128 v[200:203], v2 offset:8448                    // 000000006B3C: D9FE2100 C8000002
	v_mfma_f32_16x16x32_fp8_fp8 v[84:87], a[102:103], v[182:183], v[84:87]// 000000006B44: D3F30054 0D536D66
	v_mfma_f32_16x16x32_fp8_fp8 v[84:87], a[104:105], v[184:185], v[84:87]// 000000006B4C: D3F30054 0D537168
	buffer_load_dwordx4 a[44:47], v34, s[24:27], 0 offen offset:3072// 000000006B54: E05C1C00 80862C22
	v_mfma_f32_16x16x32_fp8_fp8 v[84:87], a[106:107], v[186:187], v[84:87]// 000000006B5C: D3F30054 0D53756A
	v_mfma_f32_16x16x32_fp8_fp8 v[84:87], a[108:109], v[188:189], v[84:87]// 000000006B64: D3F30054 0D53796C
	ds_read_b128 v[204:207], v2 offset:8512                    // 000000006B6C: D9FE2140 CC000002
	v_mfma_f32_16x16x32_fp8_fp8 v[84:87], a[110:111], v[190:191], v[84:87]// 000000006B74: D3F30054 0D537D6E
	s_waitcnt vmcnt(12)                                        // 000000006B7C: BF8C0F7C
	v_mfma_f32_16x16x32_fp8_fp8 v[88:91], a[112:113], v[160:161], v[88:91]// 000000006B80: D3F30058 0D634170
	buffer_load_dwordx4 a[48:51], v35, s[24:27], 0 offen       // 000000006B88: E05C1000 80863023
	v_mfma_f32_16x16x32_fp8_fp8 v[88:91], a[114:115], v[162:163], v[88:91]// 000000006B90: D3F30058 0D634572
	v_mfma_f32_16x16x32_fp8_fp8 v[88:91], a[116:117], v[164:165], v[88:91]// 000000006B98: D3F30058 0D634974
	ds_read_b128 v[208:211], v2 offset:9344                    // 000000006BA0: D9FE2480 D0000002
	v_mfma_f32_16x16x32_fp8_fp8 v[88:91], a[118:119], v[166:167], v[88:91]// 000000006BA8: D3F30058 0D634D76
	v_mfma_f32_16x16x32_fp8_fp8 v[88:91], a[120:121], v[168:169], v[88:91]// 000000006BB0: D3F30058 0D635178
	buffer_load_dwordx4 a[52:55], v35, s[24:27], 0 offen offset:1024// 000000006BB8: E05C1400 80863423
	v_mfma_f32_16x16x32_fp8_fp8 v[88:91], a[122:123], v[170:171], v[88:91]// 000000006BC0: D3F30058 0D63557A
	v_mfma_f32_16x16x32_fp8_fp8 v[88:91], a[124:125], v[172:173], v[88:91]// 000000006BC8: D3F30058 0D63597C
	ds_read_b128 v[212:215], v2 offset:9408                    // 000000006BD0: D9FE24C0 D4000002
	v_mfma_f32_16x16x32_fp8_fp8 v[88:91], a[126:127], v[174:175], v[88:91]// 000000006BD8: D3F30058 0D635D7E
	v_mfma_f32_16x16x32_fp8_fp8 v[92:95], a[112:113], v[176:177], v[92:95]// 000000006BE0: D3F3005C 0D736170
	buffer_load_dwordx4 a[56:59], v35, s[24:27], 0 offen offset:2048// 000000006BE8: E05C1800 80863823
	v_mfma_f32_16x16x32_fp8_fp8 v[92:95], a[114:115], v[178:179], v[92:95]// 000000006BF0: D3F3005C 0D736572
	v_mfma_f32_16x16x32_fp8_fp8 v[92:95], a[116:117], v[180:181], v[92:95]// 000000006BF8: D3F3005C 0D736974
	ds_read_b128 v[216:219], v2 offset:9472                    // 000000006C00: D9FE2500 D8000002
	v_mfma_f32_16x16x32_fp8_fp8 v[92:95], a[118:119], v[182:183], v[92:95]// 000000006C08: D3F3005C 0D736D76
	v_mfma_f32_16x16x32_fp8_fp8 v[92:95], a[120:121], v[184:185], v[92:95]// 000000006C10: D3F3005C 0D737178
	buffer_load_dwordx4 a[60:63], v35, s[24:27], 0 offen offset:3072// 000000006C18: E05C1C00 80863C23
	v_mfma_f32_16x16x32_fp8_fp8 v[92:95], a[122:123], v[186:187], v[92:95]// 000000006C20: D3F3005C 0D73757A
	v_mfma_f32_16x16x32_fp8_fp8 v[92:95], a[124:125], v[188:189], v[92:95]// 000000006C28: D3F3005C 0D73797C
	ds_read_b128 v[220:223], v2 offset:9536                    // 000000006C30: D9FE2540 DC000002
	v_mfma_f32_16x16x32_fp8_fp8 v[92:95], a[126:127], v[190:191], v[92:95]// 000000006C38: D3F3005C 0D737D7E
	s_add_u32 s60, 0x200, s80                                  // 000000006C40: 803C50FF 00000200
	s_cmp_lt_u32 s60, s81                                      // 000000006C48: BF0A513C
	s_cselect_b32 s57, s57, 0                                  // 000000006C4C: 85398039
	s_add_u32 s60, 0x200, s80                                  // 000000006C50: 803C50FF 00000200
	s_cmp_lt_u32 s60, s81                                      // 000000006C58: BF0A513C
	s_cselect_b32 s58, s58, 0                                  // 000000006C5C: 853A803A
	s_add_u32 s20, s57, s20                                    // 000000006C60: 80141439
	s_addc_u32 s21, 0, s21                                     // 000000006C64: 82151580
	s_add_u32 s24, s58, s24                                    // 000000006C68: 8018183A
	s_addc_u32 s25, 0, s25                                     // 000000006C6C: 82191980
	s_add_u32 s92, s90, s92                                    // 000000006C70: 805C5C5A
	s_addc_u32 s93, 0, s93                                     // 000000006C74: 825D5D80
	s_addk_i32 s80, 0x100                                      // 000000006C78: B7500100
	s_cmp_lt_i32 s80, s81                                      // 000000006C7C: BF045150
	s_cbranch_scc0 label_112A                                  // 000000006C80: BF840189
	s_waitcnt vmcnt(8) lgkmcnt(0)                              // 000000006C84: BF8C0078
	s_barrier                                                  // 000000006C88: BF8A0000
	v_mfma_f32_16x16x32_fp8_fp8 v[128:131], a[0:1], v[192:193], v[128:131]// 000000006C8C: D3F30080 0E038100
	buffer_load_dwordx4 a[64:67], v32, s[92:95], 0 offen       // 000000006C94: E05C1000 80974020
	v_mfma_f32_16x16x32_fp8_fp8 v[128:131], a[2:3], v[194:195], v[128:131]// 000000006C9C: D3F30080 0E038502
	v_mfma_f32_16x16x32_fp8_fp8 v[128:131], a[4:5], v[196:197], v[128:131]// 000000006CA4: D3F30080 0E038904
	buffer_load_dword v24, s[20:23], 0 offen lds               // 000000006CAC: E0511000 80050018
	s_add_u32 m0, 0x100, s50                                   // 000000006CB4: 807C32FF 00000100
	v_mfma_f32_16x16x32_fp8_fp8 v[128:131], a[6:7], v[198:199], v[128:131]// 000000006CBC: D3F30080 0E038D06
	v_mfma_f32_16x16x32_fp8_fp8 v[128:131], a[8:9], v[200:201], v[128:131]// 000000006CC4: D3F30080 0E039108
	buffer_load_dwordx4 a[68:71], v32, s[92:95], 0 offen offset:1024// 000000006CCC: E05C1400 80974420
	v_mfma_f32_16x16x32_fp8_fp8 v[128:131], a[10:11], v[202:203], v[128:131]// 000000006CD4: D3F30080 0E03950A
	v_mfma_f32_16x16x32_fp8_fp8 v[128:131], a[12:13], v[204:205], v[128:131]// 000000006CDC: D3F30080 0E03990C
	buffer_load_dword v25, s[20:23], 0 offen lds               // 000000006CE4: E0511000 80050019
	s_add_u32 m0, 0x200, s50                                   // 000000006CEC: 807C32FF 00000200
	v_mfma_f32_16x16x32_fp8_fp8 v[128:131], a[14:15], v[206:207], v[128:131]// 000000006CF4: D3F30080 0E039D0E
	v_mfma_f32_16x16x32_fp8_fp8 v[132:135], a[0:1], v[208:209], v[132:135]// 000000006CFC: D3F30084 0E13A100
	buffer_load_dwordx4 a[72:75], v32, s[92:95], 0 offen offset:2048// 000000006D04: E05C1800 80974820
	v_mfma_f32_16x16x32_fp8_fp8 v[132:135], a[2:3], v[210:211], v[132:135]// 000000006D0C: D3F30084 0E13A502
	v_mfma_f32_16x16x32_fp8_fp8 v[132:135], a[4:5], v[212:213], v[132:135]// 000000006D14: D3F30084 0E13A904
	buffer_load_dword v26, s[20:23], 0 offen lds               // 000000006D1C: E0511000 8005001A
	s_add_u32 m0, 0x300, s50                                   // 000000006D24: 807C32FF 00000300
	v_mfma_f32_16x16x32_fp8_fp8 v[132:135], a[6:7], v[214:215], v[132:135]// 000000006D2C: D3F30084 0E13AD06
	v_mfma_f32_16x16x32_fp8_fp8 v[132:135], a[8:9], v[216:217], v[132:135]// 000000006D34: D3F30084 0E13B108
	buffer_load_dwordx4 a[76:79], v32, s[92:95], 0 offen offset:3072// 000000006D3C: E05C1C00 80974C20
	v_mfma_f32_16x16x32_fp8_fp8 v[132:135], a[10:11], v[218:219], v[132:135]// 000000006D44: D3F30084 0E13B50A
	v_mfma_f32_16x16x32_fp8_fp8 v[132:135], a[12:13], v[220:221], v[132:135]// 000000006D4C: D3F30084 0E13B90C
	buffer_load_dword v27, s[20:23], 0 offen lds               // 000000006D54: E0511000 8005001B
	s_add_u32 m0, 0x400, s50                                   // 000000006D5C: 807C32FF 00000400
	v_mfma_f32_16x16x32_fp8_fp8 v[132:135], a[14:15], v[222:223], v[132:135]// 000000006D64: D3F30084 0E13BD0E
	v_mfma_f32_16x16x32_fp8_fp8 v[136:139], a[16:17], v[192:193], v[136:139]// 000000006D6C: D3F30088 0E238110
	buffer_load_dwordx4 a[80:83], v33, s[92:95], 0 offen       // 000000006D74: E05C1000 80975021
	v_mfma_f32_16x16x32_fp8_fp8 v[136:139], a[18:19], v[194:195], v[136:139]// 000000006D7C: D3F30088 0E238512
	v_mfma_f32_16x16x32_fp8_fp8 v[136:139], a[20:21], v[196:197], v[136:139]// 000000006D84: D3F30088 0E238914
	buffer_load_dword v28, s[20:23], 0 offen lds               // 000000006D8C: E0511000 8005001C
	s_add_u32 m0, 0x500, s50                                   // 000000006D94: 807C32FF 00000500
	v_mfma_f32_16x16x32_fp8_fp8 v[136:139], a[22:23], v[198:199], v[136:139]// 000000006D9C: D3F30088 0E238D16
	v_mfma_f32_16x16x32_fp8_fp8 v[136:139], a[24:25], v[200:201], v[136:139]// 000000006DA4: D3F30088 0E239118
	buffer_load_dwordx4 a[84:87], v33, s[92:95], 0 offen offset:1024// 000000006DAC: E05C1400 80975421
	v_mfma_f32_16x16x32_fp8_fp8 v[136:139], a[26:27], v[202:203], v[136:139]// 000000006DB4: D3F30088 0E23951A
	v_mfma_f32_16x16x32_fp8_fp8 v[136:139], a[28:29], v[204:205], v[136:139]// 000000006DBC: D3F30088 0E23991C
	buffer_load_dword v29, s[20:23], 0 offen lds               // 000000006DC4: E0511000 8005001D
	s_add_u32 m0, 0x600, s50                                   // 000000006DCC: 807C32FF 00000600
	v_mfma_f32_16x16x32_fp8_fp8 v[136:139], a[30:31], v[206:207], v[136:139]// 000000006DD4: D3F30088 0E239D1E
	v_mfma_f32_16x16x32_fp8_fp8 v[140:143], a[16:17], v[208:209], v[140:143]// 000000006DDC: D3F3008C 0E33A110
	buffer_load_dwordx4 a[88:91], v33, s[92:95], 0 offen offset:2048// 000000006DE4: E05C1800 80975821
	v_mfma_f32_16x16x32_fp8_fp8 v[140:143], a[18:19], v[210:211], v[140:143]// 000000006DEC: D3F3008C 0E33A512
	v_mfma_f32_16x16x32_fp8_fp8 v[140:143], a[20:21], v[212:213], v[140:143]// 000000006DF4: D3F3008C 0E33A914
	buffer_load_dword v30, s[20:23], 0 offen lds               // 000000006DFC: E0511000 8005001E
	s_add_u32 m0, 0x700, s50                                   // 000000006E04: 807C32FF 00000700
	v_mfma_f32_16x16x32_fp8_fp8 v[140:143], a[22:23], v[214:215], v[140:143]// 000000006E0C: D3F3008C 0E33AD16
	v_mfma_f32_16x16x32_fp8_fp8 v[140:143], a[24:25], v[216:217], v[140:143]// 000000006E14: D3F3008C 0E33B118
	buffer_load_dwordx4 a[92:95], v33, s[92:95], 0 offen offset:3072// 000000006E1C: E05C1C00 80975C21
	v_mfma_f32_16x16x32_fp8_fp8 v[140:143], a[26:27], v[218:219], v[140:143]// 000000006E24: D3F3008C 0E33B51A
	v_mfma_f32_16x16x32_fp8_fp8 v[140:143], a[28:29], v[220:221], v[140:143]// 000000006E2C: D3F3008C 0E33B91C
	buffer_load_dword v31, s[20:23], 0 offen lds               // 000000006E34: E0511000 8005001F
	s_add_u32 m0, 0, s51                                       // 000000006E3C: 807C3380
	v_mfma_f32_16x16x32_fp8_fp8 v[140:143], a[30:31], v[222:223], v[140:143]// 000000006E40: D3F3008C 0E33BD1E
	s_waitcnt vmcnt(20)                                        // 000000006E48: BF8C4F74
	v_mfma_f32_16x16x32_fp8_fp8 v[144:147], a[32:33], v[192:193], v[144:147]// 000000006E4C: D3F30090 0E438120
	buffer_load_dwordx4 a[96:99], v34, s[92:95], 0 offen       // 000000006E54: E05C1000 80976022
	v_mfma_f32_16x16x32_fp8_fp8 v[144:147], a[34:35], v[194:195], v[144:147]// 000000006E5C: D3F30090 0E438522
	v_mfma_f32_16x16x32_fp8_fp8 v[144:147], a[36:37], v[196:197], v[144:147]// 000000006E64: D3F30090 0E438924
	v_mfma_f32_16x16x32_fp8_fp8 v[144:147], a[38:39], v[198:199], v[144:147]// 000000006E6C: D3F30090 0E438D26
	v_mfma_f32_16x16x32_fp8_fp8 v[144:147], a[40:41], v[200:201], v[144:147]// 000000006E74: D3F30090 0E439128
	buffer_load_dwordx4 a[100:103], v34, s[92:95], 0 offen offset:1024// 000000006E7C: E05C1400 80976422
	v_mfma_f32_16x16x32_fp8_fp8 v[144:147], a[42:43], v[202:203], v[144:147]// 000000006E84: D3F30090 0E43952A
	v_mfma_f32_16x16x32_fp8_fp8 v[144:147], a[44:45], v[204:205], v[144:147]// 000000006E8C: D3F30090 0E43992C
	v_mfma_f32_16x16x32_fp8_fp8 v[144:147], a[46:47], v[206:207], v[144:147]// 000000006E94: D3F30090 0E439D2E
	v_mfma_f32_16x16x32_fp8_fp8 v[148:151], a[32:33], v[208:209], v[148:151]// 000000006E9C: D3F30094 0E53A120
	buffer_load_dwordx4 a[104:107], v34, s[92:95], 0 offen offset:2048// 000000006EA4: E05C1800 80976822
	v_mfma_f32_16x16x32_fp8_fp8 v[148:151], a[34:35], v[210:211], v[148:151]// 000000006EAC: D3F30094 0E53A522
	v_mfma_f32_16x16x32_fp8_fp8 v[148:151], a[36:37], v[212:213], v[148:151]// 000000006EB4: D3F30094 0E53A924
	v_mfma_f32_16x16x32_fp8_fp8 v[148:151], a[38:39], v[214:215], v[148:151]// 000000006EBC: D3F30094 0E53AD26
	v_mfma_f32_16x16x32_fp8_fp8 v[148:151], a[40:41], v[216:217], v[148:151]// 000000006EC4: D3F30094 0E53B128
	buffer_load_dwordx4 a[108:111], v34, s[92:95], 0 offen offset:3072// 000000006ECC: E05C1C00 80976C22
	v_mfma_f32_16x16x32_fp8_fp8 v[148:151], a[42:43], v[218:219], v[148:151]// 000000006ED4: D3F30094 0E53B52A
	v_mfma_f32_16x16x32_fp8_fp8 v[148:151], a[44:45], v[220:221], v[148:151]// 000000006EDC: D3F30094 0E53B92C
	v_mfma_f32_16x16x32_fp8_fp8 v[148:151], a[46:47], v[222:223], v[148:151]// 000000006EE4: D3F30094 0E53BD2E
	s_waitcnt vmcnt(20)                                        // 000000006EEC: BF8C4F74
	v_mfma_f32_16x16x32_fp8_fp8 v[152:155], a[48:49], v[192:193], v[152:155]// 000000006EF0: D3F30098 0E638130
	buffer_load_dwordx4 a[112:115], v35, s[92:95], 0 offen     // 000000006EF8: E05C1000 80977023
	v_mfma_f32_16x16x32_fp8_fp8 v[152:155], a[50:51], v[194:195], v[152:155]// 000000006F00: D3F30098 0E638532
	v_mfma_f32_16x16x32_fp8_fp8 v[152:155], a[52:53], v[196:197], v[152:155]// 000000006F08: D3F30098 0E638934
	v_mfma_f32_16x16x32_fp8_fp8 v[152:155], a[54:55], v[198:199], v[152:155]// 000000006F10: D3F30098 0E638D36
	v_mfma_f32_16x16x32_fp8_fp8 v[152:155], a[56:57], v[200:201], v[152:155]// 000000006F18: D3F30098 0E639138
	buffer_load_dwordx4 a[116:119], v35, s[92:95], 0 offen offset:1024// 000000006F20: E05C1400 80977423
	v_mfma_f32_16x16x32_fp8_fp8 v[152:155], a[58:59], v[202:203], v[152:155]// 000000006F28: D3F30098 0E63953A
	v_mfma_f32_16x16x32_fp8_fp8 v[152:155], a[60:61], v[204:205], v[152:155]// 000000006F30: D3F30098 0E63993C
	v_mfma_f32_16x16x32_fp8_fp8 v[152:155], a[62:63], v[206:207], v[152:155]// 000000006F38: D3F30098 0E639D3E
	v_mfma_f32_16x16x32_fp8_fp8 v[156:159], a[48:49], v[208:209], v[156:159]// 000000006F40: D3F3009C 0E73A130
	buffer_load_dwordx4 a[120:123], v35, s[92:95], 0 offen offset:2048// 000000006F48: E05C1800 80977823
	v_mfma_f32_16x16x32_fp8_fp8 v[156:159], a[50:51], v[210:211], v[156:159]// 000000006F50: D3F3009C 0E73A532
	v_mfma_f32_16x16x32_fp8_fp8 v[156:159], a[52:53], v[212:213], v[156:159]// 000000006F58: D3F3009C 0E73A934
	v_mfma_f32_16x16x32_fp8_fp8 v[156:159], a[54:55], v[214:215], v[156:159]// 000000006F60: D3F3009C 0E73AD36
	v_mfma_f32_16x16x32_fp8_fp8 v[156:159], a[56:57], v[216:217], v[156:159]// 000000006F68: D3F3009C 0E73B138
	buffer_load_dwordx4 a[124:127], v35, s[92:95], 0 offen offset:3072// 000000006F70: E05C1C00 80977C23
	v_mfma_f32_16x16x32_fp8_fp8 v[156:159], a[58:59], v[218:219], v[156:159]// 000000006F78: D3F3009C 0E73B53A
	v_mfma_f32_16x16x32_fp8_fp8 v[156:159], a[60:61], v[220:221], v[156:159]// 000000006F80: D3F3009C 0E73B93C
	v_mfma_f32_16x16x32_fp8_fp8 v[156:159], a[62:63], v[222:223], v[156:159]// 000000006F88: D3F3009C 0E73BD3E
	s_waitcnt vmcnt(8)                                         // 000000006F90: BF8C0F78
	s_barrier                                                  // 000000006F94: BF8A0000
	v_mfma_f32_16x16x32_fp8_fp8 v[64:67], a[64:65], v[192:193], v[64:67]// 000000006F98: D3F30040 0D038140
	buffer_load_dwordx4 a[0:3], v32, s[24:27], 0 offen         // 000000006FA0: E05C1000 80860020
	v_mfma_f32_16x16x32_fp8_fp8 v[64:67], a[66:67], v[194:195], v[64:67]// 000000006FA8: D3F30040 0D038542
	v_mfma_f32_16x16x32_fp8_fp8 v[64:67], a[68:69], v[196:197], v[64:67]// 000000006FB0: D3F30040 0D038944
	v_mfma_f32_16x16x32_fp8_fp8 v[64:67], a[70:71], v[198:199], v[64:67]// 000000006FB8: D3F30040 0D038D46
	v_mfma_f32_16x16x32_fp8_fp8 v[64:67], a[72:73], v[200:201], v[64:67]// 000000006FC0: D3F30040 0D039148
	buffer_load_dwordx4 a[4:7], v32, s[24:27], 0 offen offset:1024// 000000006FC8: E05C1400 80860420
	v_mfma_f32_16x16x32_fp8_fp8 v[64:67], a[74:75], v[202:203], v[64:67]// 000000006FD0: D3F30040 0D03954A
	v_mfma_f32_16x16x32_fp8_fp8 v[64:67], a[76:77], v[204:205], v[64:67]// 000000006FD8: D3F30040 0D03994C
	v_mfma_f32_16x16x32_fp8_fp8 v[64:67], a[78:79], v[206:207], v[64:67]// 000000006FE0: D3F30040 0D039D4E
	v_mfma_f32_16x16x32_fp8_fp8 v[68:71], a[64:65], v[208:209], v[68:71]// 000000006FE8: D3F30044 0D13A140
	buffer_load_dwordx4 a[8:11], v32, s[24:27], 0 offen offset:2048// 000000006FF0: E05C1800 80860820
	v_mfma_f32_16x16x32_fp8_fp8 v[68:71], a[66:67], v[210:211], v[68:71]// 000000006FF8: D3F30044 0D13A542
	v_mfma_f32_16x16x32_fp8_fp8 v[68:71], a[68:69], v[212:213], v[68:71]// 000000007000: D3F30044 0D13A944
	v_mfma_f32_16x16x32_fp8_fp8 v[68:71], a[70:71], v[214:215], v[68:71]// 000000007008: D3F30044 0D13AD46
	v_mfma_f32_16x16x32_fp8_fp8 v[68:71], a[72:73], v[216:217], v[68:71]// 000000007010: D3F30044 0D13B148
	buffer_load_dwordx4 a[12:15], v32, s[24:27], 0 offen offset:3072// 000000007018: E05C1C00 80860C20
	v_mfma_f32_16x16x32_fp8_fp8 v[68:71], a[74:75], v[218:219], v[68:71]// 000000007020: D3F30044 0D13B54A
	v_mfma_f32_16x16x32_fp8_fp8 v[68:71], a[76:77], v[220:221], v[68:71]// 000000007028: D3F30044 0D13B94C
	v_mfma_f32_16x16x32_fp8_fp8 v[68:71], a[78:79], v[222:223], v[68:71]// 000000007030: D3F30044 0D13BD4E
	v_mfma_f32_16x16x32_fp8_fp8 v[72:75], a[80:81], v[192:193], v[72:75]// 000000007038: D3F30048 0D238150
	buffer_load_dwordx4 a[16:19], v33, s[24:27], 0 offen       // 000000007040: E05C1000 80861021
	v_mfma_f32_16x16x32_fp8_fp8 v[72:75], a[82:83], v[194:195], v[72:75]// 000000007048: D3F30048 0D238552
	v_mfma_f32_16x16x32_fp8_fp8 v[72:75], a[84:85], v[196:197], v[72:75]// 000000007050: D3F30048 0D238954
	v_mfma_f32_16x16x32_fp8_fp8 v[72:75], a[86:87], v[198:199], v[72:75]// 000000007058: D3F30048 0D238D56
	v_mfma_f32_16x16x32_fp8_fp8 v[72:75], a[88:89], v[200:201], v[72:75]// 000000007060: D3F30048 0D239158
	buffer_load_dwordx4 a[20:23], v33, s[24:27], 0 offen offset:1024// 000000007068: E05C1400 80861421
	v_mfma_f32_16x16x32_fp8_fp8 v[72:75], a[90:91], v[202:203], v[72:75]// 000000007070: D3F30048 0D23955A
	v_mfma_f32_16x16x32_fp8_fp8 v[72:75], a[92:93], v[204:205], v[72:75]// 000000007078: D3F30048 0D23995C
	v_mfma_f32_16x16x32_fp8_fp8 v[72:75], a[94:95], v[206:207], v[72:75]// 000000007080: D3F30048 0D239D5E
	v_mfma_f32_16x16x32_fp8_fp8 v[76:79], a[80:81], v[208:209], v[76:79]// 000000007088: D3F3004C 0D33A150
	buffer_load_dwordx4 a[24:27], v33, s[24:27], 0 offen offset:2048// 000000007090: E05C1800 80861821
	v_mfma_f32_16x16x32_fp8_fp8 v[76:79], a[82:83], v[210:211], v[76:79]// 000000007098: D3F3004C 0D33A552
	v_mfma_f32_16x16x32_fp8_fp8 v[76:79], a[84:85], v[212:213], v[76:79]// 0000000070A0: D3F3004C 0D33A954
	v_mfma_f32_16x16x32_fp8_fp8 v[76:79], a[86:87], v[214:215], v[76:79]// 0000000070A8: D3F3004C 0D33AD56
	v_mfma_f32_16x16x32_fp8_fp8 v[76:79], a[88:89], v[216:217], v[76:79]// 0000000070B0: D3F3004C 0D33B158
	buffer_load_dwordx4 a[28:31], v33, s[24:27], 0 offen offset:3072// 0000000070B8: E05C1C00 80861C21
	v_mfma_f32_16x16x32_fp8_fp8 v[76:79], a[90:91], v[218:219], v[76:79]// 0000000070C0: D3F3004C 0D33B55A
	v_mfma_f32_16x16x32_fp8_fp8 v[76:79], a[92:93], v[220:221], v[76:79]// 0000000070C8: D3F3004C 0D33B95C
	v_mfma_f32_16x16x32_fp8_fp8 v[76:79], a[94:95], v[222:223], v[76:79]// 0000000070D0: D3F3004C 0D33BD5E
	s_waitcnt vmcnt(12)                                        // 0000000070D8: BF8C0F7C
	v_mfma_f32_16x16x32_fp8_fp8 v[80:83], a[96:97], v[192:193], v[80:83]// 0000000070DC: D3F30050 0D438160
	buffer_load_dwordx4 a[32:35], v34, s[24:27], 0 offen       // 0000000070E4: E05C1000 80862022
	v_mfma_f32_16x16x32_fp8_fp8 v[80:83], a[98:99], v[194:195], v[80:83]// 0000000070EC: D3F30050 0D438562
	v_mfma_f32_16x16x32_fp8_fp8 v[80:83], a[100:101], v[196:197], v[80:83]// 0000000070F4: D3F30050 0D438964
	ds_read_b128 v[160:163], v2                                // 0000000070FC: D9FE0000 A0000002
	v_mfma_f32_16x16x32_fp8_fp8 v[80:83], a[102:103], v[198:199], v[80:83]// 000000007104: D3F30050 0D438D66
	v_mfma_f32_16x16x32_fp8_fp8 v[80:83], a[104:105], v[200:201], v[80:83]// 00000000710C: D3F30050 0D439168
	buffer_load_dwordx4 a[36:39], v34, s[24:27], 0 offen offset:1024// 000000007114: E05C1400 80862422
	v_mfma_f32_16x16x32_fp8_fp8 v[80:83], a[106:107], v[202:203], v[80:83]// 00000000711C: D3F30050 0D43956A
	v_mfma_f32_16x16x32_fp8_fp8 v[80:83], a[108:109], v[204:205], v[80:83]// 000000007124: D3F30050 0D43996C
	ds_read_b128 v[164:167], v2 offset:64                      // 00000000712C: D9FE0040 A4000002
	v_mfma_f32_16x16x32_fp8_fp8 v[80:83], a[110:111], v[206:207], v[80:83]// 000000007134: D3F30050 0D439D6E
	v_mfma_f32_16x16x32_fp8_fp8 v[84:87], a[96:97], v[208:209], v[84:87]// 00000000713C: D3F30054 0D53A160
	buffer_load_dwordx4 a[40:43], v34, s[24:27], 0 offen offset:2048// 000000007144: E05C1800 80862822
	v_mfma_f32_16x16x32_fp8_fp8 v[84:87], a[98:99], v[210:211], v[84:87]// 00000000714C: D3F30054 0D53A562
	v_mfma_f32_16x16x32_fp8_fp8 v[84:87], a[100:101], v[212:213], v[84:87]// 000000007154: D3F30054 0D53A964
	ds_read_b128 v[168:171], v2 offset:128                     // 00000000715C: D9FE0080 A8000002
	v_mfma_f32_16x16x32_fp8_fp8 v[84:87], a[102:103], v[214:215], v[84:87]// 000000007164: D3F30054 0D53AD66
	v_mfma_f32_16x16x32_fp8_fp8 v[84:87], a[104:105], v[216:217], v[84:87]// 00000000716C: D3F30054 0D53B168
	buffer_load_dwordx4 a[44:47], v34, s[24:27], 0 offen offset:3072// 000000007174: E05C1C00 80862C22
	v_mfma_f32_16x16x32_fp8_fp8 v[84:87], a[106:107], v[218:219], v[84:87]// 00000000717C: D3F30054 0D53B56A
	v_mfma_f32_16x16x32_fp8_fp8 v[84:87], a[108:109], v[220:221], v[84:87]// 000000007184: D3F30054 0D53B96C
	ds_read_b128 v[172:175], v2 offset:192                     // 00000000718C: D9FE00C0 AC000002
	v_mfma_f32_16x16x32_fp8_fp8 v[84:87], a[110:111], v[222:223], v[84:87]// 000000007194: D3F30054 0D53BD6E
	s_waitcnt vmcnt(12)                                        // 00000000719C: BF8C0F7C
	v_mfma_f32_16x16x32_fp8_fp8 v[88:91], a[112:113], v[192:193], v[88:91]// 0000000071A0: D3F30058 0D638170
	buffer_load_dwordx4 a[48:51], v35, s[24:27], 0 offen       // 0000000071A8: E05C1000 80863023
	v_mfma_f32_16x16x32_fp8_fp8 v[88:91], a[114:115], v[194:195], v[88:91]// 0000000071B0: D3F30058 0D638572
	v_mfma_f32_16x16x32_fp8_fp8 v[88:91], a[116:117], v[196:197], v[88:91]// 0000000071B8: D3F30058 0D638974
	ds_read_b128 v[176:179], v2 offset:1024                    // 0000000071C0: D9FE0400 B0000002
	v_mfma_f32_16x16x32_fp8_fp8 v[88:91], a[118:119], v[198:199], v[88:91]// 0000000071C8: D3F30058 0D638D76
	v_mfma_f32_16x16x32_fp8_fp8 v[88:91], a[120:121], v[200:201], v[88:91]// 0000000071D0: D3F30058 0D639178
	buffer_load_dwordx4 a[52:55], v35, s[24:27], 0 offen offset:1024// 0000000071D8: E05C1400 80863423
	v_mfma_f32_16x16x32_fp8_fp8 v[88:91], a[122:123], v[202:203], v[88:91]// 0000000071E0: D3F30058 0D63957A
	v_mfma_f32_16x16x32_fp8_fp8 v[88:91], a[124:125], v[204:205], v[88:91]// 0000000071E8: D3F30058 0D63997C
	ds_read_b128 v[180:183], v2 offset:1088                    // 0000000071F0: D9FE0440 B4000002
	v_mfma_f32_16x16x32_fp8_fp8 v[88:91], a[126:127], v[206:207], v[88:91]// 0000000071F8: D3F30058 0D639D7E
	v_mfma_f32_16x16x32_fp8_fp8 v[92:95], a[112:113], v[208:209], v[92:95]// 000000007200: D3F3005C 0D73A170
	buffer_load_dwordx4 a[56:59], v35, s[24:27], 0 offen offset:2048// 000000007208: E05C1800 80863823
	v_mfma_f32_16x16x32_fp8_fp8 v[92:95], a[114:115], v[210:211], v[92:95]// 000000007210: D3F3005C 0D73A572
	v_mfma_f32_16x16x32_fp8_fp8 v[92:95], a[116:117], v[212:213], v[92:95]// 000000007218: D3F3005C 0D73A974
	ds_read_b128 v[184:187], v2 offset:1152                    // 000000007220: D9FE0480 B8000002
	v_mfma_f32_16x16x32_fp8_fp8 v[92:95], a[118:119], v[214:215], v[92:95]// 000000007228: D3F3005C 0D73AD76
	v_mfma_f32_16x16x32_fp8_fp8 v[92:95], a[120:121], v[216:217], v[92:95]// 000000007230: D3F3005C 0D73B178
	buffer_load_dwordx4 a[60:63], v35, s[24:27], 0 offen offset:3072// 000000007238: E05C1C00 80863C23
	v_mfma_f32_16x16x32_fp8_fp8 v[92:95], a[122:123], v[218:219], v[92:95]// 000000007240: D3F3005C 0D73B57A
	v_mfma_f32_16x16x32_fp8_fp8 v[92:95], a[124:125], v[220:221], v[92:95]// 000000007248: D3F3005C 0D73B97C
	ds_read_b128 v[188:191], v2 offset:1216                    // 000000007250: D9FE04C0 BC000002
	v_mfma_f32_16x16x32_fp8_fp8 v[92:95], a[126:127], v[222:223], v[92:95]// 000000007258: D3F3005C 0D73BD7E
	s_add_u32 s60, 0x200, s80                                  // 000000007260: 803C50FF 00000200
	s_cmp_lt_u32 s60, s81                                      // 000000007268: BF0A513C
	s_cselect_b32 s57, s57, 0                                  // 00000000726C: 85398039
	s_add_u32 s60, 0x200, s80                                  // 000000007270: 803C50FF 00000200
	s_cmp_lt_u32 s60, s81                                      // 000000007278: BF0A513C
	s_cselect_b32 s58, s58, 0                                  // 00000000727C: 853A803A
	s_add_u32 s20, s57, s20                                    // 000000007280: 80141439
	s_addc_u32 s21, 0, s21                                     // 000000007284: 82151580
	s_add_u32 s24, s58, s24                                    // 000000007288: 8018183A
	s_addc_u32 s25, 0, s25                                     // 00000000728C: 82191980
	s_add_u32 s92, s90, s92                                    // 000000007290: 805C5C5A
	s_addc_u32 s93, 0, s93                                     // 000000007294: 825D5D80
	s_addk_i32 s80, 0x100                                      // 000000007298: B7500100
	s_cmp_lt_i32 s80, s81                                      // 00000000729C: BF045150
	s_cbranch_scc0 label_112A                                  // 0000000072A0: BF840001
	s_branch label_0E19                                        // 0000000072A4: BF82FCEF

00000000000072a8 <label_112A>:
	s_mov_b32 s36, -1                                          // 0000000072A8: BEA400C1
	s_mov_b32 s37, -1                                          // 0000000072AC: BEA500C1
	s_mov_b64 s[60:61], 0                                      // 0000000072B0: BEBC0180
	s_cmp_lt_u32 s82, s66                                      // 0000000072B4: BF0A4252
	s_cselect_b64 s[20:21], s[36:37], s[60:61]                 // 0000000072B8: 85943C24
	s_cmp_lt_u32 s83, s66                                      // 0000000072BC: BF0A4253
	s_cselect_b64 s[22:23], s[36:37], s[60:61]                 // 0000000072C0: 85963C24
	s_cmp_lt_u32 s84, s66                                      // 0000000072C4: BF0A4254
	s_cselect_b64 s[24:25], s[36:37], s[60:61]                 // 0000000072C8: 85983C24
	s_cmp_lt_u32 s85, s66                                      // 0000000072CC: BF0A4255
	s_cselect_b64 s[26:27], s[36:37], s[60:61]                 // 0000000072D0: 859A3C24
	s_cmp_lt_u32 s86, s66                                      // 0000000072D4: BF0A4256
	s_cselect_b64 s[28:29], s[36:37], s[60:61]                 // 0000000072D8: 859C3C24
	s_cmp_lt_u32 s87, s66                                      // 0000000072DC: BF0A4257
	s_cselect_b64 s[30:31], s[36:37], s[60:61]                 // 0000000072E0: 859E3C24
	s_cmp_lt_u32 s88, s66                                      // 0000000072E4: BF0A4258
	s_cselect_b64 s[32:33], s[36:37], s[60:61]                 // 0000000072E8: 85A03C24
	s_cmp_lt_u32 s89, s66                                      // 0000000072EC: BF0A4259
	s_cselect_b64 s[34:35], s[36:37], s[60:61]                 // 0000000072F0: 85A23C24
	v_mul_f32_e32 v128, v13, v128                              // 0000000072F4: 0B01010D
	v_mul_f32_e32 v128, v17, v128                              // 0000000072F8: 0B010111
	v_mul_f32_e32 v129, v13, v129                              // 0000000072FC: 0B03030D
	v_mul_f32_e32 v129, v17, v129                              // 000000007300: 0B030311
	v_mul_f32_e32 v130, v13, v130                              // 000000007304: 0B05050D
	v_mul_f32_e32 v130, v17, v130                              // 000000007308: 0B050511
	v_mul_f32_e32 v131, v13, v131                              // 00000000730C: 0B07070D
	v_mul_f32_e32 v131, v17, v131                              // 000000007310: 0B070711
	v_mul_f32_dpp v128, v15, v128 row_newbcast:0 row_mask:0xf bank_mask:0xf// 000000007314: 0B0100FA FF01500F
	v_mul_f32_dpp v129, v15, v129 row_newbcast:1 row_mask:0xf bank_mask:0xf// 00000000731C: 0B0302FA FF01510F
	v_mul_f32_dpp v130, v15, v130 row_newbcast:2 row_mask:0xf bank_mask:0xf// 000000007324: 0B0504FA FF01520F
	v_mul_f32_dpp v131, v15, v131 row_newbcast:3 row_mask:0xf bank_mask:0xf// 00000000732C: 0B0706FA FF01530F
	v_mul_f32_e32 v132, v14, v132                              // 000000007334: 0B09090E
	v_mul_f32_e32 v132, v18, v132                              // 000000007338: 0B090912
	v_mul_f32_e32 v133, v14, v133                              // 00000000733C: 0B0B0B0E
	v_mul_f32_e32 v133, v18, v133                              // 000000007340: 0B0B0B12
	v_mul_f32_e32 v134, v14, v134                              // 000000007344: 0B0D0D0E
	v_mul_f32_e32 v134, v18, v134                              // 000000007348: 0B0D0D12
	v_mul_f32_e32 v135, v14, v135                              // 00000000734C: 0B0F0F0E
	v_mul_f32_e32 v135, v18, v135                              // 000000007350: 0B0F0F12
	v_mul_f32_dpp v132, v15, v132 row_newbcast:0 row_mask:0xf bank_mask:0xf// 000000007354: 0B0908FA FF01500F
	v_mul_f32_dpp v133, v15, v133 row_newbcast:1 row_mask:0xf bank_mask:0xf// 00000000735C: 0B0B0AFA FF01510F
	v_mul_f32_dpp v134, v15, v134 row_newbcast:2 row_mask:0xf bank_mask:0xf// 000000007364: 0B0D0CFA FF01520F
	v_mul_f32_dpp v135, v15, v135 row_newbcast:3 row_mask:0xf bank_mask:0xf// 00000000736C: 0B0F0EFA FF01530F
	v_mul_f32_e32 v136, v13, v136                              // 000000007374: 0B11110D
	v_mul_f32_e32 v136, v17, v136                              // 000000007378: 0B111111
	v_mul_f32_e32 v137, v13, v137                              // 00000000737C: 0B13130D
	v_mul_f32_e32 v137, v17, v137                              // 000000007380: 0B131311
	v_mul_f32_e32 v138, v13, v138                              // 000000007384: 0B15150D
	v_mul_f32_e32 v138, v17, v138                              // 000000007388: 0B151511
	v_mul_f32_e32 v139, v13, v139                              // 00000000738C: 0B17170D
	v_mul_f32_e32 v139, v17, v139                              // 000000007390: 0B171711
	v_mul_f32_dpp v136, v15, v136 row_newbcast:4 row_mask:0xf bank_mask:0xf// 000000007394: 0B1110FA FF01540F
	v_mul_f32_dpp v137, v15, v137 row_newbcast:5 row_mask:0xf bank_mask:0xf// 00000000739C: 0B1312FA FF01550F
	v_mul_f32_dpp v138, v15, v138 row_newbcast:6 row_mask:0xf bank_mask:0xf// 0000000073A4: 0B1514FA FF01560F
	v_mul_f32_dpp v139, v15, v139 row_newbcast:7 row_mask:0xf bank_mask:0xf// 0000000073AC: 0B1716FA FF01570F
	v_mul_f32_e32 v140, v14, v140                              // 0000000073B4: 0B19190E
	v_mul_f32_e32 v140, v18, v140                              // 0000000073B8: 0B191912
	v_mul_f32_e32 v141, v14, v141                              // 0000000073BC: 0B1B1B0E
	v_mul_f32_e32 v141, v18, v141                              // 0000000073C0: 0B1B1B12
	v_mul_f32_e32 v142, v14, v142                              // 0000000073C4: 0B1D1D0E
	v_mul_f32_e32 v142, v18, v142                              // 0000000073C8: 0B1D1D12
	v_mul_f32_e32 v143, v14, v143                              // 0000000073CC: 0B1F1F0E
	v_mul_f32_e32 v143, v18, v143                              // 0000000073D0: 0B1F1F12
	v_mul_f32_dpp v140, v15, v140 row_newbcast:4 row_mask:0xf bank_mask:0xf// 0000000073D4: 0B1918FA FF01540F
	v_mul_f32_dpp v141, v15, v141 row_newbcast:5 row_mask:0xf bank_mask:0xf// 0000000073DC: 0B1B1AFA FF01550F
	v_mul_f32_dpp v142, v15, v142 row_newbcast:6 row_mask:0xf bank_mask:0xf// 0000000073E4: 0B1D1CFA FF01560F
	v_mul_f32_dpp v143, v15, v143 row_newbcast:7 row_mask:0xf bank_mask:0xf// 0000000073EC: 0B1F1EFA FF01570F
	v_mul_f32_e32 v144, v13, v144                              // 0000000073F4: 0B21210D
	v_mul_f32_e32 v144, v17, v144                              // 0000000073F8: 0B212111
	v_mul_f32_e32 v145, v13, v145                              // 0000000073FC: 0B23230D
	v_mul_f32_e32 v145, v17, v145                              // 000000007400: 0B232311
	v_mul_f32_e32 v146, v13, v146                              // 000000007404: 0B25250D
	v_mul_f32_e32 v146, v17, v146                              // 000000007408: 0B252511
	v_mul_f32_e32 v147, v13, v147                              // 00000000740C: 0B27270D
	v_mul_f32_e32 v147, v17, v147                              // 000000007410: 0B272711
	v_mul_f32_dpp v144, v15, v144 row_newbcast:8 row_mask:0xf bank_mask:0xf// 000000007414: 0B2120FA FF01580F
	v_mul_f32_dpp v145, v15, v145 row_newbcast:9 row_mask:0xf bank_mask:0xf// 00000000741C: 0B2322FA FF01590F
	v_mul_f32_dpp v146, v15, v146 row_newbcast:10 row_mask:0xf bank_mask:0xf// 000000007424: 0B2524FA FF015A0F
	v_mul_f32_dpp v147, v15, v147 row_newbcast:11 row_mask:0xf bank_mask:0xf// 00000000742C: 0B2726FA FF015B0F
	v_mul_f32_e32 v148, v14, v148                              // 000000007434: 0B29290E
	v_mul_f32_e32 v148, v18, v148                              // 000000007438: 0B292912
	v_mul_f32_e32 v149, v14, v149                              // 00000000743C: 0B2B2B0E
	v_mul_f32_e32 v149, v18, v149                              // 000000007440: 0B2B2B12
	v_mul_f32_e32 v150, v14, v150                              // 000000007444: 0B2D2D0E
	v_mul_f32_e32 v150, v18, v150                              // 000000007448: 0B2D2D12
	v_mul_f32_e32 v151, v14, v151                              // 00000000744C: 0B2F2F0E
	v_mul_f32_e32 v151, v18, v151                              // 000000007450: 0B2F2F12
	v_mul_f32_dpp v148, v15, v148 row_newbcast:8 row_mask:0xf bank_mask:0xf// 000000007454: 0B2928FA FF01580F
	v_mul_f32_dpp v149, v15, v149 row_newbcast:9 row_mask:0xf bank_mask:0xf// 00000000745C: 0B2B2AFA FF01590F
	v_mul_f32_dpp v150, v15, v150 row_newbcast:10 row_mask:0xf bank_mask:0xf// 000000007464: 0B2D2CFA FF015A0F
	v_mul_f32_dpp v151, v15, v151 row_newbcast:11 row_mask:0xf bank_mask:0xf// 00000000746C: 0B2F2EFA FF015B0F
	v_mul_f32_e32 v152, v13, v152                              // 000000007474: 0B31310D
	v_mul_f32_e32 v152, v17, v152                              // 000000007478: 0B313111
	v_mul_f32_e32 v153, v13, v153                              // 00000000747C: 0B33330D
	v_mul_f32_e32 v153, v17, v153                              // 000000007480: 0B333311
	v_mul_f32_e32 v154, v13, v154                              // 000000007484: 0B35350D
	v_mul_f32_e32 v154, v17, v154                              // 000000007488: 0B353511
	v_mul_f32_e32 v155, v13, v155                              // 00000000748C: 0B37370D
	v_mul_f32_e32 v155, v17, v155                              // 000000007490: 0B373711
	v_mul_f32_dpp v152, v15, v152 row_newbcast:12 row_mask:0xf bank_mask:0xf// 000000007494: 0B3130FA FF015C0F
	v_mul_f32_dpp v153, v15, v153 row_newbcast:13 row_mask:0xf bank_mask:0xf// 00000000749C: 0B3332FA FF015D0F
	v_mul_f32_dpp v154, v15, v154 row_newbcast:14 row_mask:0xf bank_mask:0xf// 0000000074A4: 0B3534FA FF015E0F
	v_mul_f32_dpp v155, v15, v155 row_newbcast:15 row_mask:0xf bank_mask:0xf// 0000000074AC: 0B3736FA FF015F0F
	v_mul_f32_e32 v156, v14, v156                              // 0000000074B4: 0B39390E
	v_mul_f32_e32 v156, v18, v156                              // 0000000074B8: 0B393912
	v_mul_f32_e32 v157, v14, v157                              // 0000000074BC: 0B3B3B0E
	v_mul_f32_e32 v157, v18, v157                              // 0000000074C0: 0B3B3B12
	v_mul_f32_e32 v158, v14, v158                              // 0000000074C4: 0B3D3D0E
	v_mul_f32_e32 v158, v18, v158                              // 0000000074C8: 0B3D3D12
	v_mul_f32_e32 v159, v14, v159                              // 0000000074CC: 0B3F3F0E
	v_mul_f32_e32 v159, v18, v159                              // 0000000074D0: 0B3F3F12
	v_mul_f32_dpp v156, v15, v156 row_newbcast:12 row_mask:0xf bank_mask:0xf// 0000000074D4: 0B3938FA FF015C0F
	v_mul_f32_dpp v157, v15, v157 row_newbcast:13 row_mask:0xf bank_mask:0xf// 0000000074DC: 0B3B3AFA FF015D0F
	v_mul_f32_dpp v158, v15, v158 row_newbcast:14 row_mask:0xf bank_mask:0xf// 0000000074E4: 0B3D3CFA FF015E0F
	v_mul_f32_dpp v159, v15, v159 row_newbcast:15 row_mask:0xf bank_mask:0xf// 0000000074EC: 0B3F3EFA FF015F0F
	v_mul_f32_e32 v64, v13, v64                                // 0000000074F4: 0A80810D
	v_mul_f32_e32 v64, v17, v64                                // 0000000074F8: 0A808111
	v_mul_f32_e32 v65, v13, v65                                // 0000000074FC: 0A82830D
	v_mul_f32_e32 v65, v17, v65                                // 000000007500: 0A828311
	v_mul_f32_e32 v66, v13, v66                                // 000000007504: 0A84850D
	v_mul_f32_e32 v66, v17, v66                                // 000000007508: 0A848511
	v_mul_f32_e32 v67, v13, v67                                // 00000000750C: 0A86870D
	v_mul_f32_e32 v67, v17, v67                                // 000000007510: 0A868711
	v_mul_f32_dpp v64, v44, v64 row_newbcast:0 row_mask:0xf bank_mask:0xf// 000000007514: 0A8080FA FF01502C
	v_mul_f32_dpp v65, v44, v65 row_newbcast:1 row_mask:0xf bank_mask:0xf// 00000000751C: 0A8282FA FF01512C
	v_mul_f32_dpp v66, v44, v66 row_newbcast:2 row_mask:0xf bank_mask:0xf// 000000007524: 0A8484FA FF01522C
	v_mul_f32_dpp v67, v44, v67 row_newbcast:3 row_mask:0xf bank_mask:0xf// 00000000752C: 0A8686FA FF01532C
	v_mul_f32_e32 v68, v14, v68                                // 000000007534: 0A88890E
	v_mul_f32_e32 v68, v18, v68                                // 000000007538: 0A888912
	v_mul_f32_e32 v69, v14, v69                                // 00000000753C: 0A8A8B0E
	v_mul_f32_e32 v69, v18, v69                                // 000000007540: 0A8A8B12
	v_mul_f32_e32 v70, v14, v70                                // 000000007544: 0A8C8D0E
	v_mul_f32_e32 v70, v18, v70                                // 000000007548: 0A8C8D12
	v_mul_f32_e32 v71, v14, v71                                // 00000000754C: 0A8E8F0E
	v_mul_f32_e32 v71, v18, v71                                // 000000007550: 0A8E8F12
	v_mul_f32_dpp v68, v44, v68 row_newbcast:0 row_mask:0xf bank_mask:0xf// 000000007554: 0A8888FA FF01502C
	v_mul_f32_dpp v69, v44, v69 row_newbcast:1 row_mask:0xf bank_mask:0xf// 00000000755C: 0A8A8AFA FF01512C
	v_mul_f32_dpp v70, v44, v70 row_newbcast:2 row_mask:0xf bank_mask:0xf// 000000007564: 0A8C8CFA FF01522C
	v_mul_f32_dpp v71, v44, v71 row_newbcast:3 row_mask:0xf bank_mask:0xf// 00000000756C: 0A8E8EFA FF01532C
	v_mul_f32_e32 v72, v13, v72                                // 000000007574: 0A90910D
	v_mul_f32_e32 v72, v17, v72                                // 000000007578: 0A909111
	v_mul_f32_e32 v73, v13, v73                                // 00000000757C: 0A92930D
	v_mul_f32_e32 v73, v17, v73                                // 000000007580: 0A929311
	v_mul_f32_e32 v74, v13, v74                                // 000000007584: 0A94950D
	v_mul_f32_e32 v74, v17, v74                                // 000000007588: 0A949511
	v_mul_f32_e32 v75, v13, v75                                // 00000000758C: 0A96970D
	v_mul_f32_e32 v75, v17, v75                                // 000000007590: 0A969711
	v_mul_f32_dpp v72, v44, v72 row_newbcast:4 row_mask:0xf bank_mask:0xf// 000000007594: 0A9090FA FF01542C
	v_mul_f32_dpp v73, v44, v73 row_newbcast:5 row_mask:0xf bank_mask:0xf// 00000000759C: 0A9292FA FF01552C
	v_mul_f32_dpp v74, v44, v74 row_newbcast:6 row_mask:0xf bank_mask:0xf// 0000000075A4: 0A9494FA FF01562C
	v_mul_f32_dpp v75, v44, v75 row_newbcast:7 row_mask:0xf bank_mask:0xf// 0000000075AC: 0A9696FA FF01572C
	v_mul_f32_e32 v76, v14, v76                                // 0000000075B4: 0A98990E
	v_mul_f32_e32 v76, v18, v76                                // 0000000075B8: 0A989912
	v_mul_f32_e32 v77, v14, v77                                // 0000000075BC: 0A9A9B0E
	v_mul_f32_e32 v77, v18, v77                                // 0000000075C0: 0A9A9B12
	v_mul_f32_e32 v78, v14, v78                                // 0000000075C4: 0A9C9D0E
	v_mul_f32_e32 v78, v18, v78                                // 0000000075C8: 0A9C9D12
	v_mul_f32_e32 v79, v14, v79                                // 0000000075CC: 0A9E9F0E
	v_mul_f32_e32 v79, v18, v79                                // 0000000075D0: 0A9E9F12
	v_mul_f32_dpp v76, v44, v76 row_newbcast:4 row_mask:0xf bank_mask:0xf// 0000000075D4: 0A9898FA FF01542C
	v_mul_f32_dpp v77, v44, v77 row_newbcast:5 row_mask:0xf bank_mask:0xf// 0000000075DC: 0A9A9AFA FF01552C
	v_mul_f32_dpp v78, v44, v78 row_newbcast:6 row_mask:0xf bank_mask:0xf// 0000000075E4: 0A9C9CFA FF01562C
	v_mul_f32_dpp v79, v44, v79 row_newbcast:7 row_mask:0xf bank_mask:0xf// 0000000075EC: 0A9E9EFA FF01572C
	v_mul_f32_e32 v80, v13, v80                                // 0000000075F4: 0AA0A10D
	v_mul_f32_e32 v80, v17, v80                                // 0000000075F8: 0AA0A111
	v_mul_f32_e32 v81, v13, v81                                // 0000000075FC: 0AA2A30D
	v_mul_f32_e32 v81, v17, v81                                // 000000007600: 0AA2A311
	v_mul_f32_e32 v82, v13, v82                                // 000000007604: 0AA4A50D
	v_mul_f32_e32 v82, v17, v82                                // 000000007608: 0AA4A511
	v_mul_f32_e32 v83, v13, v83                                // 00000000760C: 0AA6A70D
	v_mul_f32_e32 v83, v17, v83                                // 000000007610: 0AA6A711
	v_mul_f32_dpp v80, v44, v80 row_newbcast:8 row_mask:0xf bank_mask:0xf// 000000007614: 0AA0A0FA FF01582C
	v_mul_f32_dpp v81, v44, v81 row_newbcast:9 row_mask:0xf bank_mask:0xf// 00000000761C: 0AA2A2FA FF01592C
	v_mul_f32_dpp v82, v44, v82 row_newbcast:10 row_mask:0xf bank_mask:0xf// 000000007624: 0AA4A4FA FF015A2C
	v_mul_f32_dpp v83, v44, v83 row_newbcast:11 row_mask:0xf bank_mask:0xf// 00000000762C: 0AA6A6FA FF015B2C
	v_mul_f32_e32 v84, v14, v84                                // 000000007634: 0AA8A90E
	v_mul_f32_e32 v84, v18, v84                                // 000000007638: 0AA8A912
	v_mul_f32_e32 v85, v14, v85                                // 00000000763C: 0AAAAB0E
	v_mul_f32_e32 v85, v18, v85                                // 000000007640: 0AAAAB12
	v_mul_f32_e32 v86, v14, v86                                // 000000007644: 0AACAD0E
	v_mul_f32_e32 v86, v18, v86                                // 000000007648: 0AACAD12
	v_mul_f32_e32 v87, v14, v87                                // 00000000764C: 0AAEAF0E
	v_mul_f32_e32 v87, v18, v87                                // 000000007650: 0AAEAF12
	v_mul_f32_dpp v84, v44, v84 row_newbcast:8 row_mask:0xf bank_mask:0xf// 000000007654: 0AA8A8FA FF01582C
	v_mul_f32_dpp v85, v44, v85 row_newbcast:9 row_mask:0xf bank_mask:0xf// 00000000765C: 0AAAAAFA FF01592C
	v_mul_f32_dpp v86, v44, v86 row_newbcast:10 row_mask:0xf bank_mask:0xf// 000000007664: 0AACACFA FF015A2C
	v_mul_f32_dpp v87, v44, v87 row_newbcast:11 row_mask:0xf bank_mask:0xf// 00000000766C: 0AAEAEFA FF015B2C
	v_mul_f32_e32 v88, v13, v88                                // 000000007674: 0AB0B10D
	v_mul_f32_e32 v88, v17, v88                                // 000000007678: 0AB0B111
	v_mul_f32_e32 v89, v13, v89                                // 00000000767C: 0AB2B30D
	v_mul_f32_e32 v89, v17, v89                                // 000000007680: 0AB2B311
	v_mul_f32_e32 v90, v13, v90                                // 000000007684: 0AB4B50D
	v_mul_f32_e32 v90, v17, v90                                // 000000007688: 0AB4B511
	v_mul_f32_e32 v91, v13, v91                                // 00000000768C: 0AB6B70D
	v_mul_f32_e32 v91, v17, v91                                // 000000007690: 0AB6B711
	v_mul_f32_dpp v88, v44, v88 row_newbcast:12 row_mask:0xf bank_mask:0xf// 000000007694: 0AB0B0FA FF015C2C
	v_mul_f32_dpp v89, v44, v89 row_newbcast:13 row_mask:0xf bank_mask:0xf// 00000000769C: 0AB2B2FA FF015D2C
	v_mul_f32_dpp v90, v44, v90 row_newbcast:14 row_mask:0xf bank_mask:0xf// 0000000076A4: 0AB4B4FA FF015E2C
	v_mul_f32_dpp v91, v44, v91 row_newbcast:15 row_mask:0xf bank_mask:0xf// 0000000076AC: 0AB6B6FA FF015F2C
	v_mul_f32_e32 v92, v14, v92                                // 0000000076B4: 0AB8B90E
	v_mul_f32_e32 v92, v18, v92                                // 0000000076B8: 0AB8B912
	v_mul_f32_e32 v93, v14, v93                                // 0000000076BC: 0ABABB0E
	v_mul_f32_e32 v93, v18, v93                                // 0000000076C0: 0ABABB12
	v_mul_f32_e32 v94, v14, v94                                // 0000000076C4: 0ABCBD0E
	v_mul_f32_e32 v94, v18, v94                                // 0000000076C8: 0ABCBD12
	v_mul_f32_e32 v95, v14, v95                                // 0000000076CC: 0ABEBF0E
	v_mul_f32_e32 v95, v18, v95                                // 0000000076D0: 0ABEBF12
	v_mul_f32_dpp v92, v44, v92 row_newbcast:12 row_mask:0xf bank_mask:0xf// 0000000076D4: 0AB8B8FA FF015C2C
	v_mul_f32_dpp v93, v44, v93 row_newbcast:13 row_mask:0xf bank_mask:0xf// 0000000076DC: 0ABABAFA FF015D2C
	v_mul_f32_dpp v94, v44, v94 row_newbcast:14 row_mask:0xf bank_mask:0xf// 0000000076E4: 0ABCBCFA FF015E2C
	v_mul_f32_dpp v95, v44, v95 row_newbcast:15 row_mask:0xf bank_mask:0xf// 0000000076EC: 0ABEBEFA FF015F2C
	s_waitcnt vmcnt(12)                                        // 0000000076F4: BF8C0F7C
	buffer_load_dwordx4 a[0:3], v36, s[12:15], 0 offen         // 0000000076F8: E05C1000 80830024
	v_mul_f32_e32 v46, v128, v128                              // 000000007700: 0A5D0180
	v_mul_f32_e32 v47, v129, v129                              // 000000007704: 0A5F0381
	v_mul_f32_e32 v48, v130, v130                              // 000000007708: 0A610582
	v_mul_f32_e32 v49, v131, v131                              // 00000000770C: 0A630783
	v_fma_f32 v46, v46, s77, v1                                // 000000007710: D1CB002E 04049B2E
	v_fma_f32 v47, v47, s77, v1                                // 000000007718: D1CB002F 04049B2F
	v_fma_f32 v48, v48, s77, v1                                // 000000007720: D1CB0030 04049B30
	v_fma_f32 v49, v49, s77, v1                                // 000000007728: D1CB0031 04049B31
	v_mul_f32_e32 v46, v46, v128                               // 000000007730: 0A5D012E
	v_mul_f32_e32 v47, v47, v129                               // 000000007734: 0A5F032F
	v_mul_f32_e32 v48, v48, v130                               // 000000007738: 0A610530
	v_mul_f32_e32 v49, v49, v131                               // 00000000773C: 0A630731
	v_mul_f32_e64 v46, v46, s6                                 // 000000007740: D105002E 00000D2E
	v_mul_f32_e64 v47, v47, s6                                 // 000000007748: D105002F 00000D2F
	v_mul_f32_e64 v48, v48, s6                                 // 000000007750: D1050030 00000D30
	v_mul_f32_e64 v49, v49, s6                                 // 000000007758: D1050031 00000D31
	v_exp_f32_e32 v46, v46                                     // 000000007760: 7E5C412E
	v_exp_f32_e32 v47, v47                                     // 000000007764: 7E5E412F
	v_exp_f32_e32 v48, v48                                     // 000000007768: 7E604130
	v_exp_f32_e32 v49, v49                                     // 00000000776C: 7E624131
	buffer_load_dwordx4 a[4:7], v37, s[12:15], 0 offen         // 000000007770: E05C1000 80830425
	v_add_f32_e64 v46, v46, 1.0                                // 000000007778: D101002E 0001E52E
	v_add_f32_e64 v47, v47, 1.0                                // 000000007780: D101002F 0001E52F
	v_add_f32_e64 v48, v48, 1.0                                // 000000007788: D1010030 0001E530
	v_add_f32_e64 v49, v49, 1.0                                // 000000007790: D1010031 0001E531
	v_rcp_f32_e32 v46, v46                                     // 000000007798: 7E5C452E
	v_rcp_f32_e32 v47, v47                                     // 00000000779C: 7E5E452F
	v_rcp_f32_e32 v48, v48                                     // 0000000077A0: 7E604530
	v_rcp_f32_e32 v49, v49                                     // 0000000077A4: 7E624531
	v_mul_f32_e32 v128, v128, v46                              // 0000000077A8: 0B005D80
	v_mul_f32_e32 v129, v129, v47                              // 0000000077AC: 0B025F81
	v_mul_f32_e32 v130, v130, v48                              // 0000000077B0: 0B046182
	v_mul_f32_e32 v131, v131, v49                              // 0000000077B4: 0B066383
	v_mul_f32_e32 v128, v128, v64                              // 0000000077B8: 0B008180
	v_mul_f32_e32 v129, v129, v65                              // 0000000077BC: 0B028381
	v_mul_f32_e32 v130, v130, v66                              // 0000000077C0: 0B048582
	v_mul_f32_e32 v131, v131, v67                              // 0000000077C4: 0B068783
	buffer_load_dwordx4 a[8:11], v38, s[12:15], 0 offen        // 0000000077C8: E05C1000 80830826
	v_mul_f32_e32 v46, v132, v132                              // 0000000077D0: 0A5D0984
	v_mul_f32_e32 v47, v133, v133                              // 0000000077D4: 0A5F0B85
	v_mul_f32_e32 v48, v134, v134                              // 0000000077D8: 0A610D86
	v_mul_f32_e32 v49, v135, v135                              // 0000000077DC: 0A630F87
	v_fma_f32 v46, v46, s77, v1                                // 0000000077E0: D1CB002E 04049B2E
	v_fma_f32 v47, v47, s77, v1                                // 0000000077E8: D1CB002F 04049B2F
	v_fma_f32 v48, v48, s77, v1                                // 0000000077F0: D1CB0030 04049B30
	v_fma_f32 v49, v49, s77, v1                                // 0000000077F8: D1CB0031 04049B31
	v_mul_f32_e32 v46, v46, v132                               // 000000007800: 0A5D092E
	v_mul_f32_e32 v47, v47, v133                               // 000000007804: 0A5F0B2F
	v_mul_f32_e32 v48, v48, v134                               // 000000007808: 0A610D30
	v_mul_f32_e32 v49, v49, v135                               // 00000000780C: 0A630F31
	v_mul_f32_e64 v46, v46, s6                                 // 000000007810: D105002E 00000D2E
	v_mul_f32_e64 v47, v47, s6                                 // 000000007818: D105002F 00000D2F
	v_mul_f32_e64 v48, v48, s6                                 // 000000007820: D1050030 00000D30
	v_mul_f32_e64 v49, v49, s6                                 // 000000007828: D1050031 00000D31
	v_exp_f32_e32 v46, v46                                     // 000000007830: 7E5C412E
	v_exp_f32_e32 v47, v47                                     // 000000007834: 7E5E412F
	v_exp_f32_e32 v48, v48                                     // 000000007838: 7E604130
	v_exp_f32_e32 v49, v49                                     // 00000000783C: 7E624131
	buffer_load_dwordx4 a[12:15], v39, s[12:15], 0 offen       // 000000007840: E05C1000 80830C27
	s_add_u32 s12, s78, s12                                    // 000000007848: 800C0C4E
	s_addc_u32 s13, 0, s13                                     // 00000000784C: 820D0D80
	v_add_f32_e64 v46, v46, 1.0                                // 000000007850: D101002E 0001E52E
	v_add_f32_e64 v47, v47, 1.0                                // 000000007858: D101002F 0001E52F
	v_add_f32_e64 v48, v48, 1.0                                // 000000007860: D1010030 0001E530
	v_add_f32_e64 v49, v49, 1.0                                // 000000007868: D1010031 0001E531
	v_rcp_f32_e32 v46, v46                                     // 000000007870: 7E5C452E
	v_rcp_f32_e32 v47, v47                                     // 000000007874: 7E5E452F
	v_rcp_f32_e32 v48, v48                                     // 000000007878: 7E604530
	v_rcp_f32_e32 v49, v49                                     // 00000000787C: 7E624531
	v_mul_f32_e32 v132, v132, v46                              // 000000007880: 0B085D84
	v_mul_f32_e32 v133, v133, v47                              // 000000007884: 0B0A5F85
	v_mul_f32_e32 v134, v134, v48                              // 000000007888: 0B0C6186
	v_mul_f32_e32 v135, v135, v49                              // 00000000788C: 0B0E6387
	v_mul_f32_e32 v132, v132, v68                              // 000000007890: 0B088984
	v_mul_f32_e32 v133, v133, v69                              // 000000007894: 0B0A8B85
	v_mul_f32_e32 v134, v134, v70                              // 000000007898: 0B0C8D86
	v_mul_f32_e32 v135, v135, v71                              // 00000000789C: 0B0E8F87
	s_waitcnt vmcnt(12)                                        // 0000000078A0: BF8C0F7C
	buffer_load_dwordx4 a[16:19], v36, s[12:15], 0 offen       // 0000000078A4: E05C1000 80831024
	v_mul_f32_e32 v46, v136, v136                              // 0000000078AC: 0A5D1188
	v_mul_f32_e32 v47, v137, v137                              // 0000000078B0: 0A5F1389
	v_mul_f32_e32 v48, v138, v138                              // 0000000078B4: 0A61158A
	v_mul_f32_e32 v49, v139, v139                              // 0000000078B8: 0A63178B
	v_fma_f32 v46, v46, s77, v1                                // 0000000078BC: D1CB002E 04049B2E
	v_fma_f32 v47, v47, s77, v1                                // 0000000078C4: D1CB002F 04049B2F
	v_fma_f32 v48, v48, s77, v1                                // 0000000078CC: D1CB0030 04049B30
	v_fma_f32 v49, v49, s77, v1                                // 0000000078D4: D1CB0031 04049B31
	v_mul_f32_e32 v46, v46, v136                               // 0000000078DC: 0A5D112E
	v_mul_f32_e32 v47, v47, v137                               // 0000000078E0: 0A5F132F
	v_mul_f32_e32 v48, v48, v138                               // 0000000078E4: 0A611530
	v_mul_f32_e32 v49, v49, v139                               // 0000000078E8: 0A631731
	v_mul_f32_e64 v46, v46, s6                                 // 0000000078EC: D105002E 00000D2E
	v_mul_f32_e64 v47, v47, s6                                 // 0000000078F4: D105002F 00000D2F
	v_mul_f32_e64 v48, v48, s6                                 // 0000000078FC: D1050030 00000D30
	v_mul_f32_e64 v49, v49, s6                                 // 000000007904: D1050031 00000D31
	v_exp_f32_e32 v46, v46                                     // 00000000790C: 7E5C412E
	v_exp_f32_e32 v47, v47                                     // 000000007910: 7E5E412F
	v_exp_f32_e32 v48, v48                                     // 000000007914: 7E604130
	v_exp_f32_e32 v49, v49                                     // 000000007918: 7E624131
	buffer_load_dwordx4 a[20:23], v37, s[12:15], 0 offen       // 00000000791C: E05C1000 80831425
	v_add_f32_e64 v46, v46, 1.0                                // 000000007924: D101002E 0001E52E
	v_add_f32_e64 v47, v47, 1.0                                // 00000000792C: D101002F 0001E52F
	v_add_f32_e64 v48, v48, 1.0                                // 000000007934: D1010030 0001E530
	v_add_f32_e64 v49, v49, 1.0                                // 00000000793C: D1010031 0001E531
	v_rcp_f32_e32 v46, v46                                     // 000000007944: 7E5C452E
	v_rcp_f32_e32 v47, v47                                     // 000000007948: 7E5E452F
	v_rcp_f32_e32 v48, v48                                     // 00000000794C: 7E604530
	v_rcp_f32_e32 v49, v49                                     // 000000007950: 7E624531
	v_mul_f32_e32 v136, v136, v46                              // 000000007954: 0B105D88
	v_mul_f32_e32 v137, v137, v47                              // 000000007958: 0B125F89
	v_mul_f32_e32 v138, v138, v48                              // 00000000795C: 0B14618A
	v_mul_f32_e32 v139, v139, v49                              // 000000007960: 0B16638B
	v_mul_f32_e32 v136, v136, v72                              // 000000007964: 0B109188
	v_mul_f32_e32 v137, v137, v73                              // 000000007968: 0B129389
	v_mul_f32_e32 v138, v138, v74                              // 00000000796C: 0B14958A
	v_mul_f32_e32 v139, v139, v75                              // 000000007970: 0B16978B
	buffer_load_dwordx4 a[24:27], v38, s[12:15], 0 offen       // 000000007974: E05C1000 80831826
	v_mul_f32_e32 v46, v140, v140                              // 00000000797C: 0A5D198C
	v_mul_f32_e32 v47, v141, v141                              // 000000007980: 0A5F1B8D
	v_mul_f32_e32 v48, v142, v142                              // 000000007984: 0A611D8E
	v_mul_f32_e32 v49, v143, v143                              // 000000007988: 0A631F8F
	v_fma_f32 v46, v46, s77, v1                                // 00000000798C: D1CB002E 04049B2E
	v_fma_f32 v47, v47, s77, v1                                // 000000007994: D1CB002F 04049B2F
	v_fma_f32 v48, v48, s77, v1                                // 00000000799C: D1CB0030 04049B30
	v_fma_f32 v49, v49, s77, v1                                // 0000000079A4: D1CB0031 04049B31
	v_mul_f32_e32 v46, v46, v140                               // 0000000079AC: 0A5D192E
	v_mul_f32_e32 v47, v47, v141                               // 0000000079B0: 0A5F1B2F
	v_mul_f32_e32 v48, v48, v142                               // 0000000079B4: 0A611D30
	v_mul_f32_e32 v49, v49, v143                               // 0000000079B8: 0A631F31
	v_mul_f32_e64 v46, v46, s6                                 // 0000000079BC: D105002E 00000D2E
	v_mul_f32_e64 v47, v47, s6                                 // 0000000079C4: D105002F 00000D2F
	v_mul_f32_e64 v48, v48, s6                                 // 0000000079CC: D1050030 00000D30
	v_mul_f32_e64 v49, v49, s6                                 // 0000000079D4: D1050031 00000D31
	v_exp_f32_e32 v46, v46                                     // 0000000079DC: 7E5C412E
	v_exp_f32_e32 v47, v47                                     // 0000000079E0: 7E5E412F
	v_exp_f32_e32 v48, v48                                     // 0000000079E4: 7E604130
	v_exp_f32_e32 v49, v49                                     // 0000000079E8: 7E624131
	buffer_load_dwordx4 a[28:31], v39, s[12:15], 0 offen       // 0000000079EC: E05C1000 80831C27
	s_add_u32 s12, s78, s12                                    // 0000000079F4: 800C0C4E
	s_addc_u32 s13, 0, s13                                     // 0000000079F8: 820D0D80
	v_add_f32_e64 v46, v46, 1.0                                // 0000000079FC: D101002E 0001E52E
	v_add_f32_e64 v47, v47, 1.0                                // 000000007A04: D101002F 0001E52F
	v_add_f32_e64 v48, v48, 1.0                                // 000000007A0C: D1010030 0001E530
	v_add_f32_e64 v49, v49, 1.0                                // 000000007A14: D1010031 0001E531
	v_rcp_f32_e32 v46, v46                                     // 000000007A1C: 7E5C452E
	v_rcp_f32_e32 v47, v47                                     // 000000007A20: 7E5E452F
	v_rcp_f32_e32 v48, v48                                     // 000000007A24: 7E604530
	v_rcp_f32_e32 v49, v49                                     // 000000007A28: 7E624531
	v_mul_f32_e32 v140, v140, v46                              // 000000007A2C: 0B185D8C
	v_mul_f32_e32 v141, v141, v47                              // 000000007A30: 0B1A5F8D
	v_mul_f32_e32 v142, v142, v48                              // 000000007A34: 0B1C618E
	v_mul_f32_e32 v143, v143, v49                              // 000000007A38: 0B1E638F
	v_mul_f32_e32 v140, v140, v76                              // 000000007A3C: 0B18998C
	v_mul_f32_e32 v141, v141, v77                              // 000000007A40: 0B1A9B8D
	v_mul_f32_e32 v142, v142, v78                              // 000000007A44: 0B1C9D8E
	v_mul_f32_e32 v143, v143, v79                              // 000000007A48: 0B1E9F8F
	s_waitcnt vmcnt(12)                                        // 000000007A4C: BF8C0F7C
	buffer_load_dwordx4 a[32:35], v36, s[12:15], 0 offen       // 000000007A50: E05C1000 80832024
	v_mul_f32_e32 v46, v144, v144                              // 000000007A58: 0A5D2190
	v_mul_f32_e32 v47, v145, v145                              // 000000007A5C: 0A5F2391
	v_mul_f32_e32 v48, v146, v146                              // 000000007A60: 0A612592
	v_mul_f32_e32 v49, v147, v147                              // 000000007A64: 0A632793
	v_fma_f32 v46, v46, s77, v1                                // 000000007A68: D1CB002E 04049B2E
	v_fma_f32 v47, v47, s77, v1                                // 000000007A70: D1CB002F 04049B2F
	v_fma_f32 v48, v48, s77, v1                                // 000000007A78: D1CB0030 04049B30
	v_fma_f32 v49, v49, s77, v1                                // 000000007A80: D1CB0031 04049B31
	v_mul_f32_e32 v46, v46, v144                               // 000000007A88: 0A5D212E
	v_mul_f32_e32 v47, v47, v145                               // 000000007A8C: 0A5F232F
	v_mul_f32_e32 v48, v48, v146                               // 000000007A90: 0A612530
	v_mul_f32_e32 v49, v49, v147                               // 000000007A94: 0A632731
	v_mul_f32_e64 v46, v46, s6                                 // 000000007A98: D105002E 00000D2E
	v_mul_f32_e64 v47, v47, s6                                 // 000000007AA0: D105002F 00000D2F
	v_mul_f32_e64 v48, v48, s6                                 // 000000007AA8: D1050030 00000D30
	v_mul_f32_e64 v49, v49, s6                                 // 000000007AB0: D1050031 00000D31
	v_exp_f32_e32 v46, v46                                     // 000000007AB8: 7E5C412E
	v_exp_f32_e32 v47, v47                                     // 000000007ABC: 7E5E412F
	v_exp_f32_e32 v48, v48                                     // 000000007AC0: 7E604130
	v_exp_f32_e32 v49, v49                                     // 000000007AC4: 7E624131
	buffer_load_dwordx4 a[36:39], v37, s[12:15], 0 offen       // 000000007AC8: E05C1000 80832425
	v_add_f32_e64 v46, v46, 1.0                                // 000000007AD0: D101002E 0001E52E
	v_add_f32_e64 v47, v47, 1.0                                // 000000007AD8: D101002F 0001E52F
	v_add_f32_e64 v48, v48, 1.0                                // 000000007AE0: D1010030 0001E530
	v_add_f32_e64 v49, v49, 1.0                                // 000000007AE8: D1010031 0001E531
	v_rcp_f32_e32 v46, v46                                     // 000000007AF0: 7E5C452E
	v_rcp_f32_e32 v47, v47                                     // 000000007AF4: 7E5E452F
	v_rcp_f32_e32 v48, v48                                     // 000000007AF8: 7E604530
	v_rcp_f32_e32 v49, v49                                     // 000000007AFC: 7E624531
	v_mul_f32_e32 v144, v144, v46                              // 000000007B00: 0B205D90
	v_mul_f32_e32 v145, v145, v47                              // 000000007B04: 0B225F91
	v_mul_f32_e32 v146, v146, v48                              // 000000007B08: 0B246192
	v_mul_f32_e32 v147, v147, v49                              // 000000007B0C: 0B266393
	v_mul_f32_e32 v144, v144, v80                              // 000000007B10: 0B20A190
	v_mul_f32_e32 v145, v145, v81                              // 000000007B14: 0B22A391
	v_mul_f32_e32 v146, v146, v82                              // 000000007B18: 0B24A592
	v_mul_f32_e32 v147, v147, v83                              // 000000007B1C: 0B26A793
	buffer_load_dwordx4 a[40:43], v38, s[12:15], 0 offen       // 000000007B20: E05C1000 80832826
	v_mul_f32_e32 v46, v148, v148                              // 000000007B28: 0A5D2994
	v_mul_f32_e32 v47, v149, v149                              // 000000007B2C: 0A5F2B95
	v_mul_f32_e32 v48, v150, v150                              // 000000007B30: 0A612D96
	v_mul_f32_e32 v49, v151, v151                              // 000000007B34: 0A632F97
	v_fma_f32 v46, v46, s77, v1                                // 000000007B38: D1CB002E 04049B2E
	v_fma_f32 v47, v47, s77, v1                                // 000000007B40: D1CB002F 04049B2F
	v_fma_f32 v48, v48, s77, v1                                // 000000007B48: D1CB0030 04049B30
	v_fma_f32 v49, v49, s77, v1                                // 000000007B50: D1CB0031 04049B31
	v_mul_f32_e32 v46, v46, v148                               // 000000007B58: 0A5D292E
	v_mul_f32_e32 v47, v47, v149                               // 000000007B5C: 0A5F2B2F
	v_mul_f32_e32 v48, v48, v150                               // 000000007B60: 0A612D30
	v_mul_f32_e32 v49, v49, v151                               // 000000007B64: 0A632F31
	v_mul_f32_e64 v46, v46, s6                                 // 000000007B68: D105002E 00000D2E
	v_mul_f32_e64 v47, v47, s6                                 // 000000007B70: D105002F 00000D2F
	v_mul_f32_e64 v48, v48, s6                                 // 000000007B78: D1050030 00000D30
	v_mul_f32_e64 v49, v49, s6                                 // 000000007B80: D1050031 00000D31
	v_exp_f32_e32 v46, v46                                     // 000000007B88: 7E5C412E
	v_exp_f32_e32 v47, v47                                     // 000000007B8C: 7E5E412F
	v_exp_f32_e32 v48, v48                                     // 000000007B90: 7E604130
	v_exp_f32_e32 v49, v49                                     // 000000007B94: 7E624131
	buffer_load_dwordx4 a[44:47], v39, s[12:15], 0 offen       // 000000007B98: E05C1000 80832C27
	s_add_u32 s12, s78, s12                                    // 000000007BA0: 800C0C4E
	s_addc_u32 s13, 0, s13                                     // 000000007BA4: 820D0D80
	v_add_f32_e64 v46, v46, 1.0                                // 000000007BA8: D101002E 0001E52E
	v_add_f32_e64 v47, v47, 1.0                                // 000000007BB0: D101002F 0001E52F
	v_add_f32_e64 v48, v48, 1.0                                // 000000007BB8: D1010030 0001E530
	v_add_f32_e64 v49, v49, 1.0                                // 000000007BC0: D1010031 0001E531
	v_rcp_f32_e32 v46, v46                                     // 000000007BC8: 7E5C452E
	v_rcp_f32_e32 v47, v47                                     // 000000007BCC: 7E5E452F
	v_rcp_f32_e32 v48, v48                                     // 000000007BD0: 7E604530
	v_rcp_f32_e32 v49, v49                                     // 000000007BD4: 7E624531
	v_mul_f32_e32 v148, v148, v46                              // 000000007BD8: 0B285D94
	v_mul_f32_e32 v149, v149, v47                              // 000000007BDC: 0B2A5F95
	v_mul_f32_e32 v150, v150, v48                              // 000000007BE0: 0B2C6196
	v_mul_f32_e32 v151, v151, v49                              // 000000007BE4: 0B2E6397
	v_mul_f32_e32 v148, v148, v84                              // 000000007BE8: 0B28A994
	v_mul_f32_e32 v149, v149, v85                              // 000000007BEC: 0B2AAB95
	v_mul_f32_e32 v150, v150, v86                              // 000000007BF0: 0B2CAD96
	v_mul_f32_e32 v151, v151, v87                              // 000000007BF4: 0B2EAF97
	s_waitcnt vmcnt(12)                                        // 000000007BF8: BF8C0F7C
	buffer_load_dwordx4 a[48:51], v36, s[12:15], 0 offen       // 000000007BFC: E05C1000 80833024
	v_mul_f32_e32 v46, v152, v152                              // 000000007C04: 0A5D3198
	v_mul_f32_e32 v47, v153, v153                              // 000000007C08: 0A5F3399
	v_mul_f32_e32 v48, v154, v154                              // 000000007C0C: 0A61359A
	v_mul_f32_e32 v49, v155, v155                              // 000000007C10: 0A63379B
	v_fma_f32 v46, v46, s77, v1                                // 000000007C14: D1CB002E 04049B2E
	v_fma_f32 v47, v47, s77, v1                                // 000000007C1C: D1CB002F 04049B2F
	v_fma_f32 v48, v48, s77, v1                                // 000000007C24: D1CB0030 04049B30
	v_fma_f32 v49, v49, s77, v1                                // 000000007C2C: D1CB0031 04049B31
	v_mul_f32_e32 v46, v46, v152                               // 000000007C34: 0A5D312E
	v_mul_f32_e32 v47, v47, v153                               // 000000007C38: 0A5F332F
	v_mul_f32_e32 v48, v48, v154                               // 000000007C3C: 0A613530
	v_mul_f32_e32 v49, v49, v155                               // 000000007C40: 0A633731
	v_mul_f32_e64 v46, v46, s6                                 // 000000007C44: D105002E 00000D2E
	v_mul_f32_e64 v47, v47, s6                                 // 000000007C4C: D105002F 00000D2F
	v_mul_f32_e64 v48, v48, s6                                 // 000000007C54: D1050030 00000D30
	v_mul_f32_e64 v49, v49, s6                                 // 000000007C5C: D1050031 00000D31
	v_exp_f32_e32 v46, v46                                     // 000000007C64: 7E5C412E
	v_exp_f32_e32 v47, v47                                     // 000000007C68: 7E5E412F
	v_exp_f32_e32 v48, v48                                     // 000000007C6C: 7E604130
	v_exp_f32_e32 v49, v49                                     // 000000007C70: 7E624131
	buffer_load_dwordx4 a[52:55], v37, s[12:15], 0 offen       // 000000007C74: E05C1000 80833425
	v_add_f32_e64 v46, v46, 1.0                                // 000000007C7C: D101002E 0001E52E
	v_add_f32_e64 v47, v47, 1.0                                // 000000007C84: D101002F 0001E52F
	v_add_f32_e64 v48, v48, 1.0                                // 000000007C8C: D1010030 0001E530
	v_add_f32_e64 v49, v49, 1.0                                // 000000007C94: D1010031 0001E531
	v_rcp_f32_e32 v46, v46                                     // 000000007C9C: 7E5C452E
	v_rcp_f32_e32 v47, v47                                     // 000000007CA0: 7E5E452F
	v_rcp_f32_e32 v48, v48                                     // 000000007CA4: 7E604530
	v_rcp_f32_e32 v49, v49                                     // 000000007CA8: 7E624531
	v_mul_f32_e32 v152, v152, v46                              // 000000007CAC: 0B305D98
	v_mul_f32_e32 v153, v153, v47                              // 000000007CB0: 0B325F99
	v_mul_f32_e32 v154, v154, v48                              // 000000007CB4: 0B34619A
	v_mul_f32_e32 v155, v155, v49                              // 000000007CB8: 0B36639B
	v_mul_f32_e32 v152, v152, v88                              // 000000007CBC: 0B30B198
	v_mul_f32_e32 v153, v153, v89                              // 000000007CC0: 0B32B399
	v_mul_f32_e32 v154, v154, v90                              // 000000007CC4: 0B34B59A
	v_mul_f32_e32 v155, v155, v91                              // 000000007CC8: 0B36B79B
	buffer_load_dwordx4 a[56:59], v38, s[12:15], 0 offen       // 000000007CCC: E05C1000 80833826
	v_mul_f32_e32 v46, v156, v156                              // 000000007CD4: 0A5D399C
	v_mul_f32_e32 v47, v157, v157                              // 000000007CD8: 0A5F3B9D
	v_mul_f32_e32 v48, v158, v158                              // 000000007CDC: 0A613D9E
	v_mul_f32_e32 v49, v159, v159                              // 000000007CE0: 0A633F9F
	v_fma_f32 v46, v46, s77, v1                                // 000000007CE4: D1CB002E 04049B2E
	v_fma_f32 v47, v47, s77, v1                                // 000000007CEC: D1CB002F 04049B2F
	v_fma_f32 v48, v48, s77, v1                                // 000000007CF4: D1CB0030 04049B30
	v_fma_f32 v49, v49, s77, v1                                // 000000007CFC: D1CB0031 04049B31
	v_mul_f32_e32 v46, v46, v156                               // 000000007D04: 0A5D392E
	v_mul_f32_e32 v47, v47, v157                               // 000000007D08: 0A5F3B2F
	v_mul_f32_e32 v48, v48, v158                               // 000000007D0C: 0A613D30
	v_mul_f32_e32 v49, v49, v159                               // 000000007D10: 0A633F31
	v_mul_f32_e64 v46, v46, s6                                 // 000000007D14: D105002E 00000D2E
	v_mul_f32_e64 v47, v47, s6                                 // 000000007D1C: D105002F 00000D2F
	v_mul_f32_e64 v48, v48, s6                                 // 000000007D24: D1050030 00000D30
	v_mul_f32_e64 v49, v49, s6                                 // 000000007D2C: D1050031 00000D31
	v_exp_f32_e32 v46, v46                                     // 000000007D34: 7E5C412E
	v_exp_f32_e32 v47, v47                                     // 000000007D38: 7E5E412F
	v_exp_f32_e32 v48, v48                                     // 000000007D3C: 7E604130
	v_exp_f32_e32 v49, v49                                     // 000000007D40: 7E624131
	buffer_load_dwordx4 a[60:63], v39, s[12:15], 0 offen       // 000000007D44: E05C1000 80833C27
	v_add_f32_e64 v46, v46, 1.0                                // 000000007D4C: D101002E 0001E52E
	v_add_f32_e64 v47, v47, 1.0                                // 000000007D54: D101002F 0001E52F
	v_add_f32_e64 v48, v48, 1.0                                // 000000007D5C: D1010030 0001E530
	v_add_f32_e64 v49, v49, 1.0                                // 000000007D64: D1010031 0001E531
	v_rcp_f32_e32 v46, v46                                     // 000000007D6C: 7E5C452E
	v_rcp_f32_e32 v47, v47                                     // 000000007D70: 7E5E452F
	v_rcp_f32_e32 v48, v48                                     // 000000007D74: 7E604530
	v_rcp_f32_e32 v49, v49                                     // 000000007D78: 7E624531
	v_mul_f32_e32 v156, v156, v46                              // 000000007D7C: 0B385D9C
	v_mul_f32_e32 v157, v157, v47                              // 000000007D80: 0B3A5F9D
	v_mul_f32_e32 v158, v158, v48                              // 000000007D84: 0B3C619E
	v_mul_f32_e32 v159, v159, v49                              // 000000007D88: 0B3E639F
	v_mul_f32_e32 v156, v156, v92                              // 000000007D8C: 0B38B99C
	v_mul_f32_e32 v157, v157, v93                              // 000000007D90: 0B3ABB9D
	v_mul_f32_e32 v158, v158, v94                              // 000000007D94: 0B3CBD9E
	v_mul_f32_e32 v159, v159, v95                              // 000000007D98: 0B3EBF9F
	v_lshlrev_b32_e32 v46, 2, v0                               // 000000007D9C: 245C0082
	s_mul_i32 s60, s82, s71                                    // 000000007DA0: 923C4752
	v_add_u32_e64 v80, v46, s60                                // 000000007DA4: D1340050 0000792E
	v_mov_b32_e32 v81, 0                                       // 000000007DAC: 7EA20280
	s_mul_i32 s60, s83, s71                                    // 000000007DB0: 923C4753
	v_add_u32_e64 v82, v46, s60                                // 000000007DB4: D1340052 0000792E
	v_mov_b32_e32 v83, 0                                       // 000000007DBC: 7EA60280
	s_mul_i32 s60, s84, s71                                    // 000000007DC0: 923C4754
	v_add_u32_e64 v84, v46, s60                                // 000000007DC4: D1340054 0000792E
	v_mov_b32_e32 v85, 0                                       // 000000007DCC: 7EAA0280
	s_mul_i32 s60, s85, s71                                    // 000000007DD0: 923C4755
	v_add_u32_e64 v86, v46, s60                                // 000000007DD4: D1340056 0000792E
	v_mov_b32_e32 v87, 0                                       // 000000007DDC: 7EAE0280
	s_mul_i32 s60, s86, s71                                    // 000000007DE0: 923C4756
	v_add_u32_e64 v88, v46, s60                                // 000000007DE4: D1340058 0000792E
	v_mov_b32_e32 v89, 0                                       // 000000007DEC: 7EB20280
	s_mul_i32 s60, s87, s71                                    // 000000007DF0: 923C4757
	v_add_u32_e64 v90, v46, s60                                // 000000007DF4: D134005A 0000792E
	v_mov_b32_e32 v91, 0                                       // 000000007DFC: 7EB60280
	s_mul_i32 s60, s88, s71                                    // 000000007E00: 923C4758
	v_add_u32_e64 v92, v46, s60                                // 000000007E04: D134005C 0000792E
	v_mov_b32_e32 v93, 0                                       // 000000007E0C: 7EBA0280
	s_mul_i32 s60, s89, s71                                    // 000000007E10: 923C4759
	v_add_u32_e64 v94, v46, s60                                // 000000007E14: D134005E 0000792E
	v_mov_b32_e32 v95, 0                                       // 000000007E1C: 7EBE0280
	buffer_load_dword v11, v5, s[16:19], 0 offen               // 000000007E20: E0501000 80040B05
	v_mov_b32_e32 v20, 0x358637bd                              // 000000007E28: 7E2802FF 358637BD
	v_mov_b32_e32 v21, 0x358637bd                              // 000000007E30: 7E2A02FF 358637BD
	v_max3_f32 v20, |v128|, |v129|, v20                        // 000000007E38: D1D30314 04530380
	v_max3_f32 v20, |v130|, |v131|, v20                        // 000000007E40: D1D30314 04530782
	v_max3_f32 v21, |v132|, |v133|, v21                        // 000000007E48: D1D30315 04570B84
	v_max3_f32 v21, |v134|, |v135|, v21                        // 000000007E50: D1D30315 04570F86
	v_max3_f32 v20, |v136|, |v137|, v20                        // 000000007E58: D1D30314 04531388
	v_max3_f32 v20, |v138|, |v139|, v20                        // 000000007E60: D1D30314 0453178A
	v_max3_f32 v21, |v140|, |v141|, v21                        // 000000007E68: D1D30315 04571B8C
	v_max3_f32 v21, |v142|, |v143|, v21                        // 000000007E70: D1D30315 04571F8E
	v_max3_f32 v20, |v144|, |v145|, v20                        // 000000007E78: D1D30314 04532390
	v_max3_f32 v20, |v146|, |v147|, v20                        // 000000007E80: D1D30314 04532792
	v_max3_f32 v21, |v148|, |v149|, v21                        // 000000007E88: D1D30315 04572B94
	v_max3_f32 v21, |v150|, |v151|, v21                        // 000000007E90: D1D30315 04572F96
	v_max3_f32 v20, |v152|, |v153|, v20                        // 000000007E98: D1D30314 04533398
	v_max3_f32 v20, |v154|, |v155|, v20                        // 000000007EA0: D1D30314 0453379A
	v_max3_f32 v21, |v156|, |v157|, v21                        // 000000007EA8: D1D30315 04573B9C
	v_max3_f32 v21, |v158|, |v159|, v21                        // 000000007EB0: D1D30315 04573F9E
	v_lshlrev_b32_e32 v46, 3, v0                               // 000000007EB8: 245C0083
	s_mul_i32 s60, 0x200, s7                                   // 000000007EBC: 923C07FF 00000200
	v_add_u32_e32 v46, s60, v46                                // 000000007EC4: 685C5C3C
	ds_write_b64 v46, v[20:21] offset:16640                    // 000000007EC8: D89A4100 0000142E
	s_waitcnt lgkmcnt(0)                                       // 000000007ED0: BF8CC07F
	s_barrier                                                  // 000000007ED4: BF8A0000
	v_and_b32_e32 v46, 15, v0                                  // 000000007ED8: 265C008F
	v_lshlrev_b32_e32 v46, 3, v46                              // 000000007EDC: 245C5C83
	ds_read_b64 v[96:97], v46 offset:16640                     // 000000007EE0: D8EC4100 6000002E
	ds_read_b64 v[98:99], v46 offset:16768                     // 000000007EE8: D8EC4180 6200002E
	ds_read_b64 v[100:101], v46 offset:16896                   // 000000007EF0: D8EC4200 6400002E
	ds_read_b64 v[102:103], v46 offset:17024                   // 000000007EF8: D8EC4280 6600002E
	ds_read_b64 v[104:105], v46 offset:17152                   // 000000007F00: D8EC4300 6800002E
	ds_read_b64 v[106:107], v46 offset:17280                   // 000000007F08: D8EC4380 6A00002E
	ds_read_b64 v[108:109], v46 offset:17408                   // 000000007F10: D8EC4400 6C00002E
	ds_read_b64 v[110:111], v46 offset:17536                   // 000000007F18: D8EC4480 6E00002E
	ds_read_b64 v[112:113], v46 offset:17664                   // 000000007F20: D8EC4500 7000002E
	ds_read_b64 v[114:115], v46 offset:17792                   // 000000007F28: D8EC4580 7200002E
	ds_read_b64 v[116:117], v46 offset:17920                   // 000000007F30: D8EC4600 7400002E
	ds_read_b64 v[118:119], v46 offset:18048                   // 000000007F38: D8EC4680 7600002E
	ds_read_b64 v[120:121], v46 offset:18176                   // 000000007F40: D8EC4700 7800002E
	ds_read_b64 v[122:123], v46 offset:18304                   // 000000007F48: D8EC4780 7A00002E
	ds_read_b64 v[124:125], v46 offset:18432                   // 000000007F50: D8EC4800 7C00002E
	ds_read_b64 v[126:127], v46 offset:18560                   // 000000007F58: D8EC4880 7E00002E
	s_waitcnt lgkmcnt(0)                                       // 000000007F60: BF8CC07F
	v_max3_f32 v20, |v96|, |v98|, v20                          // 000000007F64: D1D30314 0452C560
	v_max3_f32 v21, |v97|, |v99|, v21                          // 000000007F6C: D1D30315 0456C761
	v_max3_f32 v20, |v100|, |v102|, v20                        // 000000007F74: D1D30314 0452CD64
	v_max3_f32 v21, |v101|, |v103|, v21                        // 000000007F7C: D1D30315 0456CF65
	v_max3_f32 v20, |v104|, |v106|, v20                        // 000000007F84: D1D30314 0452D568
	v_max3_f32 v21, |v105|, |v107|, v21                        // 000000007F8C: D1D30315 0456D769
	v_max3_f32 v20, |v108|, |v110|, v20                        // 000000007F94: D1D30314 0452DD6C
	v_max3_f32 v21, |v109|, |v111|, v21                        // 000000007F9C: D1D30315 0456DF6D
	v_max3_f32 v20, |v112|, |v114|, v20                        // 000000007FA4: D1D30314 0452E570
	v_max3_f32 v21, |v113|, |v115|, v21                        // 000000007FAC: D1D30315 0456E771
	v_max3_f32 v20, |v116|, |v118|, v20                        // 000000007FB4: D1D30314 0452ED74
	v_max3_f32 v21, |v117|, |v119|, v21                        // 000000007FBC: D1D30315 0456EF75
	v_max3_f32 v20, |v120|, |v122|, v20                        // 000000007FC4: D1D30314 0452F578
	v_max3_f32 v21, |v121|, |v123|, v21                        // 000000007FCC: D1D30315 0456F779
	v_max3_f32 v20, |v124|, |v126|, v20                        // 000000007FD4: D1D30314 0452FD7C
	v_max3_f32 v21, |v125|, |v127|, v21                        // 000000007FDC: D1D30315 0456FF7D
	v_rcp_f32_e32 v20, v20                                     // 000000007FE4: 7E284514
	v_rcp_f32_e32 v21, v21                                     // 000000007FE8: 7E2A4515
	v_mov_b32_e32 v46, 0x43700000                              // 000000007FEC: 7E5C02FF 43700000
	v_mul_f32_e32 v20, v46, v20                                // 000000007FF4: 0A28292E
	v_mul_f32_e32 v21, v46, v21                                // 000000007FF8: 0A2A2B2E
	v_mul_f32_e32 v128, v20, v128                              // 000000007FFC: 0B010114
	v_mul_f32_e32 v129, v20, v129                              // 000000008000: 0B030314
	v_mul_f32_e32 v130, v20, v130                              // 000000008004: 0B050514
	v_mul_f32_e32 v131, v20, v131                              // 000000008008: 0B070714
	v_cvt_pk_fp8_f32 v128, v128, v129                          // 00000000800C: D2A20080 00030380
	v_cvt_pk_fp8_f32 v128, v130, v131 op_sel:[0,0,1]           // 000000008014: D2A24080 00030782
	v_mul_f32_e32 v132, v21, v132                              // 00000000801C: 0B090915
	v_mul_f32_e32 v133, v21, v133                              // 000000008020: 0B0B0B15
	v_mul_f32_e32 v134, v21, v134                              // 000000008024: 0B0D0D15
	v_mul_f32_e32 v135, v21, v135                              // 000000008028: 0B0F0F15
	v_cvt_pk_fp8_f32 v129, v132, v133                          // 00000000802C: D2A20081 00030B84
	v_cvt_pk_fp8_f32 v129, v134, v135 op_sel:[0,0,1]           // 000000008034: D2A24081 00030F86
	v_mul_f32_e32 v136, v20, v136                              // 00000000803C: 0B111114
	v_mul_f32_e32 v137, v20, v137                              // 000000008040: 0B131314
	v_mul_f32_e32 v138, v20, v138                              // 000000008044: 0B151514
	v_mul_f32_e32 v139, v20, v139                              // 000000008048: 0B171714
	v_cvt_pk_fp8_f32 v130, v136, v137                          // 00000000804C: D2A20082 00031388
	v_cvt_pk_fp8_f32 v130, v138, v139 op_sel:[0,0,1]           // 000000008054: D2A24082 0003178A
	v_mul_f32_e32 v140, v21, v140                              // 00000000805C: 0B191915
	v_mul_f32_e32 v141, v21, v141                              // 000000008060: 0B1B1B15
	v_mul_f32_e32 v142, v21, v142                              // 000000008064: 0B1D1D15
	v_mul_f32_e32 v143, v21, v143                              // 000000008068: 0B1F1F15
	v_cvt_pk_fp8_f32 v131, v140, v141                          // 00000000806C: D2A20083 00031B8C
	v_cvt_pk_fp8_f32 v131, v142, v143 op_sel:[0,0,1]           // 000000008074: D2A24083 00031F8E
	v_mul_f32_e32 v144, v20, v144                              // 00000000807C: 0B212114
	v_mul_f32_e32 v145, v20, v145                              // 000000008080: 0B232314
	v_mul_f32_e32 v146, v20, v146                              // 000000008084: 0B252514
	v_mul_f32_e32 v147, v20, v147                              // 000000008088: 0B272714
	v_cvt_pk_fp8_f32 v132, v144, v145                          // 00000000808C: D2A20084 00032390
	v_cvt_pk_fp8_f32 v132, v146, v147 op_sel:[0,0,1]           // 000000008094: D2A24084 00032792
	v_mul_f32_e32 v148, v21, v148                              // 00000000809C: 0B292915
	v_mul_f32_e32 v149, v21, v149                              // 0000000080A0: 0B2B2B15
	v_mul_f32_e32 v150, v21, v150                              // 0000000080A4: 0B2D2D15
	v_mul_f32_e32 v151, v21, v151                              // 0000000080A8: 0B2F2F15
	v_cvt_pk_fp8_f32 v133, v148, v149                          // 0000000080AC: D2A20085 00032B94
	v_cvt_pk_fp8_f32 v133, v150, v151 op_sel:[0,0,1]           // 0000000080B4: D2A24085 00032F96
	v_mul_f32_e32 v152, v20, v152                              // 0000000080BC: 0B313114
	v_mul_f32_e32 v153, v20, v153                              // 0000000080C0: 0B333314
	v_mul_f32_e32 v154, v20, v154                              // 0000000080C4: 0B353514
	v_mul_f32_e32 v155, v20, v155                              // 0000000080C8: 0B373714
	v_cvt_pk_fp8_f32 v134, v152, v153                          // 0000000080CC: D2A20086 00033398
	v_cvt_pk_fp8_f32 v134, v154, v155 op_sel:[0,0,1]           // 0000000080D4: D2A24086 0003379A
	v_mul_f32_e32 v156, v21, v156                              // 0000000080DC: 0B393915
	v_mul_f32_e32 v157, v21, v157                              // 0000000080E0: 0B3B3B15
	v_mul_f32_e32 v158, v21, v158                              // 0000000080E4: 0B3D3D15
	v_mul_f32_e32 v159, v21, v159                              // 0000000080E8: 0B3F3F15
	v_cvt_pk_fp8_f32 v135, v156, v157                          // 0000000080EC: D2A20087 00033B9C
	v_cvt_pk_fp8_f32 v135, v158, v159 op_sel:[0,0,1]           // 0000000080F4: D2A24087 00033F9E
	v_rcp_f32_e32 v22, v20                                     // 0000000080FC: 7E2C4514
	v_rcp_f32_e32 v23, v21                                     // 000000008100: 7E2E4515
	v_lshrrev_b32_e32 v46, 5, v0                               // 000000008104: 205C0085
	v_lshlrev_b32_e32 v47, 5, v46                              // 000000008108: 245E5C85
	v_and_b32_e32 v46, 31, v0                                  // 00000000810C: 265C009F
	v_lshrrev_b32_e32 v48, 4, v46                              // 000000008110: 20605C84
	v_add_u32_e32 v47, v48, v47                                // 000000008114: 685E5F30
	v_and_b32_e32 v46, 15, v0                                  // 000000008118: 265C008F
	v_lshlrev_b32_e32 v46, 1, v46                              // 00000000811C: 245C5C81
	v_add_u32_e32 v47, v46, v47                                // 000000008120: 685E5F2E
	v_lshlrev_b32_e32 v46, 2, v47                              // 000000008124: 245C5E82
	s_mul_i32 s60, 0x100, s7                                   // 000000008128: 923C07FF 00000100
	v_add_u32_e64 v46, v46, s60                                // 000000008130: D134002E 0000792E
	ds_write_b32 v46, v128 offset:18688                        // 000000008138: D81A4900 0000802E
	ds_write_b32 v46, v129 offset:22784                        // 000000008140: D81A5900 0000812E
	ds_write_b32 v46, v130 offset:19712                        // 000000008148: D81A4D00 0000822E
	ds_write_b32 v46, v131 offset:23808                        // 000000008150: D81A5D00 0000832E
	ds_write_b32 v46, v132 offset:20736                        // 000000008158: D81A5100 0000842E
	ds_write_b32 v46, v133 offset:24832                        // 000000008160: D81A6100 0000852E
	ds_write_b32 v46, v134 offset:21760                        // 000000008168: D81A5500 0000862E
	ds_write_b32 v46, v135 offset:25856                        // 000000008170: D81A6500 0000872E
	s_waitcnt lgkmcnt(0)                                       // 000000008178: BF8CC07F
	s_barrier                                                  // 00000000817C: BF8A0000
	v_lshrrev_b32_e32 v46, 4, v0                               // 000000008180: 205C0084
	v_lshlrev_b32_e32 v47, 6, v46                              // 000000008184: 245E5C86
	v_and_b32_e32 v46, 15, v0                                  // 000000008188: 265C008F
	v_lshlrev_b32_e32 v46, 1, v46                              // 00000000818C: 245C5C81
	v_add_u32_e32 v47, v46, v47                                // 000000008190: 685E5F2E
	v_lshlrev_b32_e32 v46, 2, v47                              // 000000008194: 245C5E82
	ds_read_b64 v[128:129], v46 offset:18688                   // 000000008198: D8EC4900 8000002E
	ds_read_b64 v[130:131], v46 offset:18816                   // 0000000081A0: D8EC4980 8200002E
	ds_read_b64 v[132:133], v46 offset:19712                   // 0000000081A8: D8EC4D00 8400002E
	ds_read_b64 v[134:135], v46 offset:19840                   // 0000000081B0: D8EC4D80 8600002E
	ds_read_b64 v[136:137], v46 offset:20736                   // 0000000081B8: D8EC5100 8800002E
	ds_read_b64 v[138:139], v46 offset:20864                   // 0000000081C0: D8EC5180 8A00002E
	ds_read_b64 v[140:141], v46 offset:21760                   // 0000000081C8: D8EC5500 8C00002E
	ds_read_b64 v[142:143], v46 offset:21888                   // 0000000081D0: D8EC5580 8E00002E
	ds_read_b64 v[144:145], v46 offset:22784                   // 0000000081D8: D8EC5900 9000002E
	ds_read_b64 v[146:147], v46 offset:22912                   // 0000000081E0: D8EC5980 9200002E
	ds_read_b64 v[148:149], v46 offset:23808                   // 0000000081E8: D8EC5D00 9400002E
	ds_read_b64 v[150:151], v46 offset:23936                   // 0000000081F0: D8EC5D80 9600002E
	ds_read_b64 v[152:153], v46 offset:24832                   // 0000000081F8: D8EC6100 9800002E
	ds_read_b64 v[154:155], v46 offset:24960                   // 000000008200: D8EC6180 9A00002E
	ds_read_b64 v[156:157], v46 offset:25856                   // 000000008208: D8EC6500 9C00002E
	ds_read_b64 v[158:159], v46 offset:25984                   // 000000008210: D8EC6580 9E00002E
	s_add_u32 s12, s56, s12                                    // 000000008218: 800C0C38
	s_addc_u32 s13, 0, s13                                     // 00000000821C: 820D0D80
	s_add_u32 s16, s79, s16                                    // 000000008220: 8010104F
	s_addc_u32 s17, 0, s17                                     // 000000008224: 82111180
	s_mov_b32 s80, 0                                           // 000000008228: BED00080
	s_waitcnt vmcnt(0) expcnt(0) lgkmcnt(0)                    // 00000000822C: BF8C0000

0000000000008230 <label_150C>:
	s_waitcnt vmcnt(29)                                        // 000000008230: BF8C4F7D
	s_barrier                                                  // 000000008234: BF8A0000
	v_mfma_f32_16x16x32_fp8_fp8 v[160:163], a[0:1], v[128:129], 0// 000000008238: D3F300A0 0A030100
	buffer_load_dwordx4 a[64:67], v36, s[12:15], 0 offen       // 000000008240: E05C1000 80834024
	v_mfma_f32_16x16x32_fp8_fp8 v[160:163], a[2:3], v[130:131], v[160:163]// 000000008248: D3F300A0 0E830502
	v_mfma_f32_16x16x32_fp8_fp8 v[164:167], a[0:1], v[144:145], 0// 000000008250: D3F300A4 0A032100
	v_mfma_f32_16x16x32_fp8_fp8 v[164:167], a[2:3], v[146:147], v[164:167]// 000000008258: D3F300A4 0E932502
	v_mfma_f32_16x16x32_fp8_fp8 v[168:171], a[4:5], v[128:129], 0// 000000008260: D3F300A8 0A030104
	buffer_load_dwordx4 a[68:71], v37, s[12:15], 0 offen       // 000000008268: E05C1000 80834425
	v_mfma_f32_16x16x32_fp8_fp8 v[168:171], a[6:7], v[130:131], v[168:171]// 000000008270: D3F300A8 0EA30506
	v_mfma_f32_16x16x32_fp8_fp8 v[172:175], a[4:5], v[144:145], 0// 000000008278: D3F300AC 0A032104
	v_mfma_f32_16x16x32_fp8_fp8 v[172:175], a[6:7], v[146:147], v[172:175]// 000000008280: D3F300AC 0EB32506
	v_mfma_f32_16x16x32_fp8_fp8 v[176:179], a[8:9], v[128:129], 0// 000000008288: D3F300B0 0A030108
	buffer_load_dwordx4 a[72:75], v38, s[12:15], 0 offen       // 000000008290: E05C1000 80834826
	v_mfma_f32_16x16x32_fp8_fp8 v[176:179], a[10:11], v[130:131], v[176:179]// 000000008298: D3F300B0 0EC3050A
	v_mfma_f32_16x16x32_fp8_fp8 v[180:183], a[8:9], v[144:145], 0// 0000000082A0: D3F300B4 0A032108
	v_mfma_f32_16x16x32_fp8_fp8 v[180:183], a[10:11], v[146:147], v[180:183]// 0000000082A8: D3F300B4 0ED3250A
	v_mfma_f32_16x16x32_fp8_fp8 v[184:187], a[12:13], v[128:129], 0// 0000000082B0: D3F300B8 0A03010C
	buffer_load_dwordx4 a[76:79], v39, s[12:15], 0 offen       // 0000000082B8: E05C1000 80834C27
	s_add_u32 s12, s78, s12                                    // 0000000082C0: 800C0C4E
	s_addc_u32 s13, 0, s13                                     // 0000000082C4: 820D0D80
	v_mfma_f32_16x16x32_fp8_fp8 v[184:187], a[14:15], v[130:131], v[184:187]// 0000000082C8: D3F300B8 0EE3050E
	v_mfma_f32_16x16x32_fp8_fp8 v[188:191], a[12:13], v[144:145], 0// 0000000082D0: D3F300BC 0A03210C
	v_mfma_f32_16x16x32_fp8_fp8 v[188:191], a[14:15], v[146:147], v[188:191]// 0000000082D8: D3F300BC 0EF3250E
	s_waitcnt vmcnt(29)                                        // 0000000082E0: BF8C4F7D
	v_mfma_f32_16x16x32_fp8_fp8 v[160:163], a[16:17], v[132:133], v[160:163]// 0000000082E4: D3F300A0 0E830910
	buffer_load_dwordx4 a[80:83], v36, s[12:15], 0 offen       // 0000000082EC: E05C1000 80835024
	v_mfma_f32_16x16x32_fp8_fp8 v[160:163], a[18:19], v[134:135], v[160:163]// 0000000082F4: D3F300A0 0E830D12
	v_mfma_f32_16x16x32_fp8_fp8 v[164:167], a[16:17], v[148:149], v[164:167]// 0000000082FC: D3F300A4 0E932910
	v_mfma_f32_16x16x32_fp8_fp8 v[164:167], a[18:19], v[150:151], v[164:167]// 000000008304: D3F300A4 0E932D12
	v_mfma_f32_16x16x32_fp8_fp8 v[168:171], a[20:21], v[132:133], v[168:171]// 00000000830C: D3F300A8 0EA30914
	buffer_load_dwordx4 a[84:87], v37, s[12:15], 0 offen       // 000000008314: E05C1000 80835425
	v_mfma_f32_16x16x32_fp8_fp8 v[168:171], a[22:23], v[134:135], v[168:171]// 00000000831C: D3F300A8 0EA30D16
	v_mfma_f32_16x16x32_fp8_fp8 v[172:175], a[20:21], v[148:149], v[172:175]// 000000008324: D3F300AC 0EB32914
	v_mfma_f32_16x16x32_fp8_fp8 v[172:175], a[22:23], v[150:151], v[172:175]// 00000000832C: D3F300AC 0EB32D16
	v_mfma_f32_16x16x32_fp8_fp8 v[176:179], a[24:25], v[132:133], v[176:179]// 000000008334: D3F300B0 0EC30918
	buffer_load_dwordx4 a[88:91], v38, s[12:15], 0 offen       // 00000000833C: E05C1000 80835826
	v_mfma_f32_16x16x32_fp8_fp8 v[176:179], a[26:27], v[134:135], v[176:179]// 000000008344: D3F300B0 0EC30D1A
	v_mfma_f32_16x16x32_fp8_fp8 v[180:183], a[24:25], v[148:149], v[180:183]// 00000000834C: D3F300B4 0ED32918
	v_mfma_f32_16x16x32_fp8_fp8 v[180:183], a[26:27], v[150:151], v[180:183]// 000000008354: D3F300B4 0ED32D1A
	v_mfma_f32_16x16x32_fp8_fp8 v[184:187], a[28:29], v[132:133], v[184:187]// 00000000835C: D3F300B8 0EE3091C
	buffer_load_dwordx4 a[92:95], v39, s[12:15], 0 offen       // 000000008364: E05C1000 80835C27
	s_add_u32 s12, s78, s12                                    // 00000000836C: 800C0C4E
	s_addc_u32 s13, 0, s13                                     // 000000008370: 820D0D80
	v_mfma_f32_16x16x32_fp8_fp8 v[184:187], a[30:31], v[134:135], v[184:187]// 000000008374: D3F300B8 0EE30D1E
	v_mfma_f32_16x16x32_fp8_fp8 v[188:191], a[28:29], v[148:149], v[188:191]// 00000000837C: D3F300BC 0EF3291C
	v_mfma_f32_16x16x32_fp8_fp8 v[188:191], a[30:31], v[150:151], v[188:191]// 000000008384: D3F300BC 0EF32D1E
	s_waitcnt vmcnt(29)                                        // 00000000838C: BF8C4F7D
	v_mfma_f32_16x16x32_fp8_fp8 v[160:163], a[32:33], v[136:137], v[160:163]// 000000008390: D3F300A0 0E831120
	buffer_load_dwordx4 a[96:99], v36, s[12:15], 0 offen       // 000000008398: E05C1000 80836024
	v_mfma_f32_16x16x32_fp8_fp8 v[160:163], a[34:35], v[138:139], v[160:163]// 0000000083A0: D3F300A0 0E831522
	v_mfma_f32_16x16x32_fp8_fp8 v[164:167], a[32:33], v[152:153], v[164:167]// 0000000083A8: D3F300A4 0E933120
	v_mfma_f32_16x16x32_fp8_fp8 v[164:167], a[34:35], v[154:155], v[164:167]// 0000000083B0: D3F300A4 0E933522
	v_mfma_f32_16x16x32_fp8_fp8 v[168:171], a[36:37], v[136:137], v[168:171]// 0000000083B8: D3F300A8 0EA31124
	buffer_load_dwordx4 a[100:103], v37, s[12:15], 0 offen     // 0000000083C0: E05C1000 80836425
	v_mfma_f32_16x16x32_fp8_fp8 v[168:171], a[38:39], v[138:139], v[168:171]// 0000000083C8: D3F300A8 0EA31526
	v_mfma_f32_16x16x32_fp8_fp8 v[172:175], a[36:37], v[152:153], v[172:175]// 0000000083D0: D3F300AC 0EB33124
	v_mfma_f32_16x16x32_fp8_fp8 v[172:175], a[38:39], v[154:155], v[172:175]// 0000000083D8: D3F300AC 0EB33526
	v_mfma_f32_16x16x32_fp8_fp8 v[176:179], a[40:41], v[136:137], v[176:179]// 0000000083E0: D3F300B0 0EC31128
	buffer_load_dwordx4 a[104:107], v38, s[12:15], 0 offen     // 0000000083E8: E05C1000 80836826
	v_mfma_f32_16x16x32_fp8_fp8 v[176:179], a[42:43], v[138:139], v[176:179]// 0000000083F0: D3F300B0 0EC3152A
	v_mfma_f32_16x16x32_fp8_fp8 v[180:183], a[40:41], v[152:153], v[180:183]// 0000000083F8: D3F300B4 0ED33128
	v_mfma_f32_16x16x32_fp8_fp8 v[180:183], a[42:43], v[154:155], v[180:183]// 000000008400: D3F300B4 0ED3352A
	v_mfma_f32_16x16x32_fp8_fp8 v[184:187], a[44:45], v[136:137], v[184:187]// 000000008408: D3F300B8 0EE3112C
	buffer_load_dwordx4 a[108:111], v39, s[12:15], 0 offen     // 000000008410: E05C1000 80836C27
	s_add_u32 s12, s78, s12                                    // 000000008418: 800C0C4E
	s_addc_u32 s13, 0, s13                                     // 00000000841C: 820D0D80
	v_mfma_f32_16x16x32_fp8_fp8 v[184:187], a[46:47], v[138:139], v[184:187]// 000000008420: D3F300B8 0EE3152E
	v_mfma_f32_16x16x32_fp8_fp8 v[188:191], a[44:45], v[152:153], v[188:191]// 000000008428: D3F300BC 0EF3312C
	v_mfma_f32_16x16x32_fp8_fp8 v[188:191], a[46:47], v[154:155], v[188:191]// 000000008430: D3F300BC 0EF3352E
	s_waitcnt vmcnt(28)                                        // 000000008438: BF8C4F7C
	v_mfma_f32_16x16x32_fp8_fp8 v[160:163], a[48:49], v[140:141], v[160:163]// 00000000843C: D3F300A0 0E831930
	buffer_load_dwordx4 a[112:115], v36, s[12:15], 0 offen     // 000000008444: E05C1000 80837024
	v_mfma_f32_16x16x32_fp8_fp8 v[160:163], a[50:51], v[142:143], v[160:163]// 00000000844C: D3F300A0 0E831D32
	v_mfma_f32_16x16x32_fp8_fp8 v[164:167], a[48:49], v[156:157], v[164:167]// 000000008454: D3F300A4 0E933930
	buffer_load_dword v12, v5, s[16:19], 0 offen               // 00000000845C: E0501000 80040C05
	v_mfma_f32_16x16x32_fp8_fp8 v[164:167], a[50:51], v[158:159], v[164:167]// 000000008464: D3F300A4 0E933D32
	v_mfma_f32_16x16x32_fp8_fp8 v[168:171], a[52:53], v[140:141], v[168:171]// 00000000846C: D3F300A8 0EA31934
	buffer_load_dwordx4 a[116:119], v37, s[12:15], 0 offen     // 000000008474: E05C1000 80837425
	v_mfma_f32_16x16x32_fp8_fp8 v[168:171], a[54:55], v[142:143], v[168:171]// 00000000847C: D3F300A8 0EA31D36
	v_mfma_f32_16x16x32_fp8_fp8 v[172:175], a[52:53], v[156:157], v[172:175]// 000000008484: D3F300AC 0EB33934
	v_mfma_f32_16x16x32_fp8_fp8 v[172:175], a[54:55], v[158:159], v[172:175]// 00000000848C: D3F300AC 0EB33D36
	v_mfma_f32_16x16x32_fp8_fp8 v[176:179], a[56:57], v[140:141], v[176:179]// 000000008494: D3F300B0 0EC31938
	buffer_load_dwordx4 a[120:123], v38, s[12:15], 0 offen     // 00000000849C: E05C1000 80837826
	v_mfma_f32_16x16x32_fp8_fp8 v[176:179], a[58:59], v[142:143], v[176:179]// 0000000084A4: D3F300B0 0EC31D3A
	v_mfma_f32_16x16x32_fp8_fp8 v[180:183], a[56:57], v[156:157], v[180:183]// 0000000084AC: D3F300B4 0ED33938
	v_mfma_f32_16x16x32_fp8_fp8 v[180:183], a[58:59], v[158:159], v[180:183]// 0000000084B4: D3F300B4 0ED33D3A
	v_mfma_f32_16x16x32_fp8_fp8 v[184:187], a[60:61], v[140:141], v[184:187]// 0000000084BC: D3F300B8 0EE3193C
	buffer_load_dwordx4 a[124:127], v39, s[12:15], 0 offen     // 0000000084C4: E05C1000 80837C27
	v_mfma_f32_16x16x32_fp8_fp8 v[184:187], a[62:63], v[142:143], v[184:187]// 0000000084CC: D3F300B8 0EE31D3E
	v_mfma_f32_16x16x32_fp8_fp8 v[188:191], a[60:61], v[156:157], v[188:191]// 0000000084D4: D3F300BC 0EF3393C
	v_mfma_f32_16x16x32_fp8_fp8 v[188:191], a[62:63], v[158:159], v[188:191]// 0000000084DC: D3F300BC 0EF33D3E
	s_add_u32 s60, 0x200, s80                                  // 0000000084E4: 803C50FF 00000200
	s_cmp_lt_u32 s60, s81                                      // 0000000084EC: BF0A513C
	s_cselect_b32 s56, s56, 0                                  // 0000000084F0: 85388038
	s_cselect_b32 s78, s78, 0                                  // 0000000084F4: 854E804E
	s_cselect_b32 s79, s79, 0                                  // 0000000084F8: 854F804F
	s_add_u32 s12, s56, s12                                    // 0000000084FC: 800C0C38
	s_addc_u32 s13, 0, s13                                     // 000000008500: 820D0D80
	s_add_u32 s16, s79, s16                                    // 000000008504: 8010104F
	s_addc_u32 s17, 0, s17                                     // 000000008508: 82111180
	v_mul_f32_e32 v160, v22, v160                              // 00000000850C: 0B414116
	v_mul_f32_e32 v161, v22, v161                              // 000000008510: 0B434316
	v_mul_f32_e32 v162, v22, v162                              // 000000008514: 0B454516
	v_mul_f32_e32 v163, v22, v163                              // 000000008518: 0B474716
	v_mul_f32_dpp v160, v11, v160 row_newbcast:0 row_mask:0xf bank_mask:0xf// 00000000851C: 0B4140FA FF01500B
	v_mul_f32_dpp v161, v11, v161 row_newbcast:1 row_mask:0xf bank_mask:0xf// 000000008524: 0B4342FA FF01510B
	v_mul_f32_dpp v162, v11, v162 row_newbcast:2 row_mask:0xf bank_mask:0xf// 00000000852C: 0B4544FA FF01520B
	v_mul_f32_dpp v163, v11, v163 row_newbcast:3 row_mask:0xf bank_mask:0xf// 000000008534: 0B4746FA FF01530B
	v_mul_f32_e32 v164, v23, v164                              // 00000000853C: 0B494917
	v_mul_f32_e32 v165, v23, v165                              // 000000008540: 0B4B4B17
	v_mul_f32_e32 v166, v23, v166                              // 000000008544: 0B4D4D17
	v_mul_f32_e32 v167, v23, v167                              // 000000008548: 0B4F4F17
	v_mul_f32_dpp v164, v11, v164 row_newbcast:0 row_mask:0xf bank_mask:0xf// 00000000854C: 0B4948FA FF01500B
	v_mul_f32_dpp v165, v11, v165 row_newbcast:1 row_mask:0xf bank_mask:0xf// 000000008554: 0B4B4AFA FF01510B
	v_mul_f32_dpp v166, v11, v166 row_newbcast:2 row_mask:0xf bank_mask:0xf// 00000000855C: 0B4D4CFA FF01520B
	v_mul_f32_dpp v167, v11, v167 row_newbcast:3 row_mask:0xf bank_mask:0xf// 000000008564: 0B4F4EFA FF01530B
	v_mul_f32_e32 v168, v22, v168                              // 00000000856C: 0B515116
	v_mul_f32_e32 v169, v22, v169                              // 000000008570: 0B535316
	v_mul_f32_e32 v170, v22, v170                              // 000000008574: 0B555516
	v_mul_f32_e32 v171, v22, v171                              // 000000008578: 0B575716
	v_mul_f32_dpp v168, v11, v168 row_newbcast:4 row_mask:0xf bank_mask:0xf// 00000000857C: 0B5150FA FF01540B
	v_mul_f32_dpp v169, v11, v169 row_newbcast:5 row_mask:0xf bank_mask:0xf// 000000008584: 0B5352FA FF01550B
	v_mul_f32_dpp v170, v11, v170 row_newbcast:6 row_mask:0xf bank_mask:0xf// 00000000858C: 0B5554FA FF01560B
	v_mul_f32_dpp v171, v11, v171 row_newbcast:7 row_mask:0xf bank_mask:0xf// 000000008594: 0B5756FA FF01570B
	v_mul_f32_e32 v172, v23, v172                              // 00000000859C: 0B595917
	v_mul_f32_e32 v173, v23, v173                              // 0000000085A0: 0B5B5B17
	v_mul_f32_e32 v174, v23, v174                              // 0000000085A4: 0B5D5D17
	v_mul_f32_e32 v175, v23, v175                              // 0000000085A8: 0B5F5F17
	v_mul_f32_dpp v172, v11, v172 row_newbcast:4 row_mask:0xf bank_mask:0xf// 0000000085AC: 0B5958FA FF01540B
	v_mul_f32_dpp v173, v11, v173 row_newbcast:5 row_mask:0xf bank_mask:0xf// 0000000085B4: 0B5B5AFA FF01550B
	v_mul_f32_dpp v174, v11, v174 row_newbcast:6 row_mask:0xf bank_mask:0xf// 0000000085BC: 0B5D5CFA FF01560B
	v_mul_f32_dpp v175, v11, v175 row_newbcast:7 row_mask:0xf bank_mask:0xf// 0000000085C4: 0B5F5EFA FF01570B
	v_mul_f32_e32 v176, v22, v176                              // 0000000085CC: 0B616116
	v_mul_f32_e32 v177, v22, v177                              // 0000000085D0: 0B636316
	v_mul_f32_e32 v178, v22, v178                              // 0000000085D4: 0B656516
	v_mul_f32_e32 v179, v22, v179                              // 0000000085D8: 0B676716
	v_mul_f32_dpp v176, v11, v176 row_newbcast:8 row_mask:0xf bank_mask:0xf// 0000000085DC: 0B6160FA FF01580B
	v_mul_f32_dpp v177, v11, v177 row_newbcast:9 row_mask:0xf bank_mask:0xf// 0000000085E4: 0B6362FA FF01590B
	v_mul_f32_dpp v178, v11, v178 row_newbcast:10 row_mask:0xf bank_mask:0xf// 0000000085EC: 0B6564FA FF015A0B
	v_mul_f32_dpp v179, v11, v179 row_newbcast:11 row_mask:0xf bank_mask:0xf// 0000000085F4: 0B6766FA FF015B0B
	v_mul_f32_e32 v180, v23, v180                              // 0000000085FC: 0B696917
	v_mul_f32_e32 v181, v23, v181                              // 000000008600: 0B6B6B17
	v_mul_f32_e32 v182, v23, v182                              // 000000008604: 0B6D6D17
	v_mul_f32_e32 v183, v23, v183                              // 000000008608: 0B6F6F17
	v_mul_f32_dpp v180, v11, v180 row_newbcast:8 row_mask:0xf bank_mask:0xf// 00000000860C: 0B6968FA FF01580B
	v_mul_f32_dpp v181, v11, v181 row_newbcast:9 row_mask:0xf bank_mask:0xf// 000000008614: 0B6B6AFA FF01590B
	v_mul_f32_dpp v182, v11, v182 row_newbcast:10 row_mask:0xf bank_mask:0xf// 00000000861C: 0B6D6CFA FF015A0B
	v_mul_f32_dpp v183, v11, v183 row_newbcast:11 row_mask:0xf bank_mask:0xf// 000000008624: 0B6F6EFA FF015B0B
	v_mul_f32_e32 v184, v22, v184                              // 00000000862C: 0B717116
	v_mul_f32_e32 v185, v22, v185                              // 000000008630: 0B737316
	v_mul_f32_e32 v186, v22, v186                              // 000000008634: 0B757516
	v_mul_f32_e32 v187, v22, v187                              // 000000008638: 0B777716
	v_mul_f32_dpp v184, v11, v184 row_newbcast:12 row_mask:0xf bank_mask:0xf// 00000000863C: 0B7170FA FF015C0B
	v_mul_f32_dpp v185, v11, v185 row_newbcast:13 row_mask:0xf bank_mask:0xf// 000000008644: 0B7372FA FF015D0B
	v_mul_f32_dpp v186, v11, v186 row_newbcast:14 row_mask:0xf bank_mask:0xf// 00000000864C: 0B7574FA FF015E0B
	v_mul_f32_dpp v187, v11, v187 row_newbcast:15 row_mask:0xf bank_mask:0xf// 000000008654: 0B7776FA FF015F0B
	v_mul_f32_e32 v188, v23, v188                              // 00000000865C: 0B797917
	v_mul_f32_e32 v189, v23, v189                              // 000000008660: 0B7B7B17
	v_mul_f32_e32 v190, v23, v190                              // 000000008664: 0B7D7D17
	v_mul_f32_e32 v191, v23, v191                              // 000000008668: 0B7F7F17
	v_mul_f32_dpp v188, v11, v188 row_newbcast:12 row_mask:0xf bank_mask:0xf// 00000000866C: 0B7978FA FF015C0B
	v_mul_f32_dpp v189, v11, v189 row_newbcast:13 row_mask:0xf bank_mask:0xf// 000000008674: 0B7B7AFA FF015D0B
	v_mul_f32_dpp v190, v11, v190 row_newbcast:14 row_mask:0xf bank_mask:0xf// 00000000867C: 0B7D7CFA FF015E0B
	v_mul_f32_dpp v191, v11, v191 row_newbcast:15 row_mask:0xf bank_mask:0xf// 000000008684: 0B7F7EFA FF015F0B
	v_cmp_u_f32_e64 s[48:49], v160, v160                       // 00000000868C: D0480030 000341A0
	v_add3_u32 v40, v160, v43, 1                               // 000000008694: D1FF0028 020657A0
	v_cndmask_b32_e64 v46, v40, v42, s[48:49]                  // 00000000869C: D100002E 00C25528
	v_cmp_u_f32_e64 s[48:49], v161, v161                       // 0000000086A4: D0480030 000343A1
	v_add3_u32 v40, v161, v43, 1                               // 0000000086AC: D1FF0028 020657A1
	v_cndmask_b32_e64 v47, v40, v42, s[48:49]                  // 0000000086B4: D100002F 00C25528
	v_perm_b32 v160, v47, v46, s52                             // 0000000086BC: D1ED00A0 00D25D2F
	v_cmp_u_f32_e64 s[48:49], v162, v162                       // 0000000086C4: D0480030 000345A2
	v_add3_u32 v40, v162, v43, 1                               // 0000000086CC: D1FF0028 020657A2
	v_cndmask_b32_e64 v46, v40, v42, s[48:49]                  // 0000000086D4: D100002E 00C25528
	v_cmp_u_f32_e64 s[48:49], v163, v163                       // 0000000086DC: D0480030 000347A3
	v_add3_u32 v40, v163, v43, 1                               // 0000000086E4: D1FF0028 020657A3
	v_cndmask_b32_e64 v47, v40, v42, s[48:49]                  // 0000000086EC: D100002F 00C25528
	v_perm_b32 v161, v47, v46, s52                             // 0000000086F4: D1ED00A1 00D25D2F
	v_cmp_u_f32_e64 s[48:49], v164, v164                       // 0000000086FC: D0480030 000349A4
	v_add3_u32 v40, v164, v43, 1                               // 000000008704: D1FF0028 020657A4
	v_cndmask_b32_e64 v46, v40, v42, s[48:49]                  // 00000000870C: D100002E 00C25528
	v_cmp_u_f32_e64 s[48:49], v165, v165                       // 000000008714: D0480030 00034BA5
	v_add3_u32 v40, v165, v43, 1                               // 00000000871C: D1FF0028 020657A5
	v_cndmask_b32_e64 v47, v40, v42, s[48:49]                  // 000000008724: D100002F 00C25528
	v_perm_b32 v162, v47, v46, s52                             // 00000000872C: D1ED00A2 00D25D2F
	v_cmp_u_f32_e64 s[48:49], v166, v166                       // 000000008734: D0480030 00034DA6
	v_add3_u32 v40, v166, v43, 1                               // 00000000873C: D1FF0028 020657A6
	v_cndmask_b32_e64 v46, v40, v42, s[48:49]                  // 000000008744: D100002E 00C25528
	v_cmp_u_f32_e64 s[48:49], v167, v167                       // 00000000874C: D0480030 00034FA7
	v_add3_u32 v40, v167, v43, 1                               // 000000008754: D1FF0028 020657A7
	v_cndmask_b32_e64 v47, v40, v42, s[48:49]                  // 00000000875C: D100002F 00C25528
	v_perm_b32 v163, v47, v46, s52                             // 000000008764: D1ED00A3 00D25D2F
	v_cmp_u_f32_e64 s[48:49], v168, v168                       // 00000000876C: D0480030 000351A8
	v_add3_u32 v40, v168, v43, 1                               // 000000008774: D1FF0028 020657A8
	v_cndmask_b32_e64 v46, v40, v42, s[48:49]                  // 00000000877C: D100002E 00C25528
	v_cmp_u_f32_e64 s[48:49], v169, v169                       // 000000008784: D0480030 000353A9
	v_add3_u32 v40, v169, v43, 1                               // 00000000878C: D1FF0028 020657A9
	v_cndmask_b32_e64 v47, v40, v42, s[48:49]                  // 000000008794: D100002F 00C25528
	v_perm_b32 v164, v47, v46, s52                             // 00000000879C: D1ED00A4 00D25D2F
	v_cmp_u_f32_e64 s[48:49], v170, v170                       // 0000000087A4: D0480030 000355AA
	v_add3_u32 v40, v170, v43, 1                               // 0000000087AC: D1FF0028 020657AA
	v_cndmask_b32_e64 v46, v40, v42, s[48:49]                  // 0000000087B4: D100002E 00C25528
	v_cmp_u_f32_e64 s[48:49], v171, v171                       // 0000000087BC: D0480030 000357AB
	v_add3_u32 v40, v171, v43, 1                               // 0000000087C4: D1FF0028 020657AB
	v_cndmask_b32_e64 v47, v40, v42, s[48:49]                  // 0000000087CC: D100002F 00C25528
	v_perm_b32 v165, v47, v46, s52                             // 0000000087D4: D1ED00A5 00D25D2F
	v_cmp_u_f32_e64 s[48:49], v172, v172                       // 0000000087DC: D0480030 000359AC
	v_add3_u32 v40, v172, v43, 1                               // 0000000087E4: D1FF0028 020657AC
	v_cndmask_b32_e64 v46, v40, v42, s[48:49]                  // 0000000087EC: D100002E 00C25528
	v_cmp_u_f32_e64 s[48:49], v173, v173                       // 0000000087F4: D0480030 00035BAD
	v_add3_u32 v40, v173, v43, 1                               // 0000000087FC: D1FF0028 020657AD
	v_cndmask_b32_e64 v47, v40, v42, s[48:49]                  // 000000008804: D100002F 00C25528
	v_perm_b32 v166, v47, v46, s52                             // 00000000880C: D1ED00A6 00D25D2F
	v_cmp_u_f32_e64 s[48:49], v174, v174                       // 000000008814: D0480030 00035DAE
	v_add3_u32 v40, v174, v43, 1                               // 00000000881C: D1FF0028 020657AE
	v_cndmask_b32_e64 v46, v40, v42, s[48:49]                  // 000000008824: D100002E 00C25528
	v_cmp_u_f32_e64 s[48:49], v175, v175                       // 00000000882C: D0480030 00035FAF
	v_add3_u32 v40, v175, v43, 1                               // 000000008834: D1FF0028 020657AF
	v_cndmask_b32_e64 v47, v40, v42, s[48:49]                  // 00000000883C: D100002F 00C25528
	v_perm_b32 v167, v47, v46, s52                             // 000000008844: D1ED00A7 00D25D2F
	v_cmp_u_f32_e64 s[48:49], v176, v176                       // 00000000884C: D0480030 000361B0
	v_add3_u32 v40, v176, v43, 1                               // 000000008854: D1FF0028 020657B0
	v_cndmask_b32_e64 v46, v40, v42, s[48:49]                  // 00000000885C: D100002E 00C25528
	v_cmp_u_f32_e64 s[48:49], v177, v177                       // 000000008864: D0480030 000363B1
	v_add3_u32 v40, v177, v43, 1                               // 00000000886C: D1FF0028 020657B1
	v_cndmask_b32_e64 v47, v40, v42, s[48:49]                  // 000000008874: D100002F 00C25528
	v_perm_b32 v168, v47, v46, s52                             // 00000000887C: D1ED00A8 00D25D2F
	v_cmp_u_f32_e64 s[48:49], v178, v178                       // 000000008884: D0480030 000365B2
	v_add3_u32 v40, v178, v43, 1                               // 00000000888C: D1FF0028 020657B2
	v_cndmask_b32_e64 v46, v40, v42, s[48:49]                  // 000000008894: D100002E 00C25528
	v_cmp_u_f32_e64 s[48:49], v179, v179                       // 00000000889C: D0480030 000367B3
	v_add3_u32 v40, v179, v43, 1                               // 0000000088A4: D1FF0028 020657B3
	v_cndmask_b32_e64 v47, v40, v42, s[48:49]                  // 0000000088AC: D100002F 00C25528
	v_perm_b32 v169, v47, v46, s52                             // 0000000088B4: D1ED00A9 00D25D2F
	v_cmp_u_f32_e64 s[48:49], v180, v180                       // 0000000088BC: D0480030 000369B4
	v_add3_u32 v40, v180, v43, 1                               // 0000000088C4: D1FF0028 020657B4
	v_cndmask_b32_e64 v46, v40, v42, s[48:49]                  // 0000000088CC: D100002E 00C25528
	v_cmp_u_f32_e64 s[48:49], v181, v181                       // 0000000088D4: D0480030 00036BB5
	v_add3_u32 v40, v181, v43, 1                               // 0000000088DC: D1FF0028 020657B5
	v_cndmask_b32_e64 v47, v40, v42, s[48:49]                  // 0000000088E4: D100002F 00C25528
	v_perm_b32 v170, v47, v46, s52                             // 0000000088EC: D1ED00AA 00D25D2F
	v_cmp_u_f32_e64 s[48:49], v182, v182                       // 0000000088F4: D0480030 00036DB6
	v_add3_u32 v40, v182, v43, 1                               // 0000000088FC: D1FF0028 020657B6
	v_cndmask_b32_e64 v46, v40, v42, s[48:49]                  // 000000008904: D100002E 00C25528
	v_cmp_u_f32_e64 s[48:49], v183, v183                       // 00000000890C: D0480030 00036FB7
	v_add3_u32 v40, v183, v43, 1                               // 000000008914: D1FF0028 020657B7
	v_cndmask_b32_e64 v47, v40, v42, s[48:49]                  // 00000000891C: D100002F 00C25528
	v_perm_b32 v171, v47, v46, s52                             // 000000008924: D1ED00AB 00D25D2F
	v_cmp_u_f32_e64 s[48:49], v184, v184                       // 00000000892C: D0480030 000371B8
	v_add3_u32 v40, v184, v43, 1                               // 000000008934: D1FF0028 020657B8
	v_cndmask_b32_e64 v46, v40, v42, s[48:49]                  // 00000000893C: D100002E 00C25528
	v_cmp_u_f32_e64 s[48:49], v185, v185                       // 000000008944: D0480030 000373B9
	v_add3_u32 v40, v185, v43, 1                               // 00000000894C: D1FF0028 020657B9
	v_cndmask_b32_e64 v47, v40, v42, s[48:49]                  // 000000008954: D100002F 00C25528
	v_perm_b32 v172, v47, v46, s52                             // 00000000895C: D1ED00AC 00D25D2F
	v_cmp_u_f32_e64 s[48:49], v186, v186                       // 000000008964: D0480030 000375BA
	v_add3_u32 v40, v186, v43, 1                               // 00000000896C: D1FF0028 020657BA
	v_cndmask_b32_e64 v46, v40, v42, s[48:49]                  // 000000008974: D100002E 00C25528
	v_cmp_u_f32_e64 s[48:49], v187, v187                       // 00000000897C: D0480030 000377BB
	v_add3_u32 v40, v187, v43, 1                               // 000000008984: D1FF0028 020657BB
	v_cndmask_b32_e64 v47, v40, v42, s[48:49]                  // 00000000898C: D100002F 00C25528
	v_perm_b32 v173, v47, v46, s52                             // 000000008994: D1ED00AD 00D25D2F
	v_cmp_u_f32_e64 s[48:49], v188, v188                       // 00000000899C: D0480030 000379BC
	v_add3_u32 v40, v188, v43, 1                               // 0000000089A4: D1FF0028 020657BC
	v_cndmask_b32_e64 v46, v40, v42, s[48:49]                  // 0000000089AC: D100002E 00C25528
	v_cmp_u_f32_e64 s[48:49], v189, v189                       // 0000000089B4: D0480030 00037BBD
	v_add3_u32 v40, v189, v43, 1                               // 0000000089BC: D1FF0028 020657BD
	v_cndmask_b32_e64 v47, v40, v42, s[48:49]                  // 0000000089C4: D100002F 00C25528
	v_perm_b32 v174, v47, v46, s52                             // 0000000089CC: D1ED00AE 00D25D2F
	v_cmp_u_f32_e64 s[48:49], v190, v190                       // 0000000089D4: D0480030 00037DBE
	v_add3_u32 v40, v190, v43, 1                               // 0000000089DC: D1FF0028 020657BE
	v_cndmask_b32_e64 v46, v40, v42, s[48:49]                  // 0000000089E4: D100002E 00C25528
	v_cmp_u_f32_e64 s[48:49], v191, v191                       // 0000000089EC: D0480030 00037FBF
	v_add3_u32 v40, v191, v43, 1                               // 0000000089F4: D1FF0028 020657BF
	v_cndmask_b32_e64 v47, v40, v42, s[48:49]                  // 0000000089FC: D100002F 00C25528
	v_perm_b32 v175, v47, v46, s52                             // 000000008A04: D1ED00AF 00D25D2F
	ds_write_b64 v3, v[160:161] offset:26880                   // 000000008A0C: D89A6900 0000A003
	ds_write_b64 v3, v[162:163] offset:35584                   // 000000008A14: D89A8B00 0000A203
	ds_write_b64 v3, v[164:165] offset:29056                   // 000000008A1C: D89A7180 0000A403
	ds_write_b64 v3, v[166:167] offset:37760                   // 000000008A24: D89A9380 0000A603
	ds_write_b64 v3, v[168:169] offset:31232                   // 000000008A2C: D89A7A00 0000A803
	ds_write_b64 v3, v[170:171] offset:39936                   // 000000008A34: D89A9C00 0000AA03
	ds_write_b64 v3, v[172:173] offset:33408                   // 000000008A3C: D89A8280 0000AC03
	ds_write_b64 v3, v[174:175] offset:42112                   // 000000008A44: D89AA480 0000AE03
	s_waitcnt lgkmcnt(0)                                       // 000000008A4C: BF8CC07F
	s_barrier                                                  // 000000008A50: BF8A0000
	ds_read_b32 v64, v4 offset:26880                           // 000000008A54: D86C6900 40000004
	ds_read_b32 v65, v4 offset:31232                           // 000000008A5C: D86C7A00 41000004
	ds_read_b32 v66, v4 offset:26912                           // 000000008A64: D86C6920 42000004
	ds_read_b32 v67, v4 offset:31264                           // 000000008A6C: D86C7A20 43000004
	ds_read_b32 v68, v4 offset:26944                           // 000000008A74: D86C6940 44000004
	ds_read_b32 v69, v4 offset:31296                           // 000000008A7C: D86C7A40 45000004
	ds_read_b32 v70, v4 offset:26976                           // 000000008A84: D86C6960 46000004
	ds_read_b32 v71, v4 offset:31328                           // 000000008A8C: D86C7A60 47000004
	ds_read_b32 v72, v4 offset:35584                           // 000000008A94: D86C8B00 48000004
	ds_read_b32 v73, v4 offset:39936                           // 000000008A9C: D86C9C00 49000004
	ds_read_b32 v74, v4 offset:35616                           // 000000008AA4: D86C8B20 4A000004
	ds_read_b32 v75, v4 offset:39968                           // 000000008AAC: D86C9C20 4B000004
	ds_read_b32 v76, v4 offset:35648                           // 000000008AB4: D86C8B40 4C000004
	ds_read_b32 v77, v4 offset:40000                           // 000000008ABC: D86C9C40 4D000004
	ds_read_b32 v78, v4 offset:35680                           // 000000008AC4: D86C8B60 4E000004
	ds_read_b32 v79, v4 offset:40032                           // 000000008ACC: D86C9C60 4F000004
	s_waitcnt lgkmcnt(0)                                       // 000000008AD4: BF8CC07F
	s_mov_b64 exec, s[20:21]                                   // 000000008AD8: BEFE0114
	global_atomic_pk_add_bf16 v80, v64, s[8:9]                 // 000000008ADC: DD488000 00084050
	s_mov_b64 exec, s[36:37]                                   // 000000008AE4: BEFE0124
	s_mov_b64 exec, s[20:21]                                   // 000000008AE8: BEFE0114
	global_atomic_pk_add_bf16 v80, v65, s[8:9] offset:256      // 000000008AEC: DD488100 00084150
	s_mov_b64 exec, s[36:37]                                   // 000000008AF4: BEFE0124
	s_mov_b64 exec, s[22:23]                                   // 000000008AF8: BEFE0116
	global_atomic_pk_add_bf16 v82, v66, s[8:9]                 // 000000008AFC: DD488000 00084252
	s_mov_b64 exec, s[36:37]                                   // 000000008B04: BEFE0124
	s_mov_b64 exec, s[22:23]                                   // 000000008B08: BEFE0116
	global_atomic_pk_add_bf16 v82, v67, s[8:9] offset:256      // 000000008B0C: DD488100 00084352
	s_mov_b64 exec, s[36:37]                                   // 000000008B14: BEFE0124
	s_mov_b64 exec, s[24:25]                                   // 000000008B18: BEFE0118
	global_atomic_pk_add_bf16 v84, v68, s[8:9]                 // 000000008B1C: DD488000 00084454
	s_mov_b64 exec, s[36:37]                                   // 000000008B24: BEFE0124
	s_mov_b64 exec, s[24:25]                                   // 000000008B28: BEFE0118
	global_atomic_pk_add_bf16 v84, v69, s[8:9] offset:256      // 000000008B2C: DD488100 00084554
	s_mov_b64 exec, s[36:37]                                   // 000000008B34: BEFE0124
	s_mov_b64 exec, s[26:27]                                   // 000000008B38: BEFE011A
	global_atomic_pk_add_bf16 v86, v70, s[8:9]                 // 000000008B3C: DD488000 00084656
	s_mov_b64 exec, s[36:37]                                   // 000000008B44: BEFE0124
	s_mov_b64 exec, s[26:27]                                   // 000000008B48: BEFE011A
	global_atomic_pk_add_bf16 v86, v71, s[8:9] offset:256      // 000000008B4C: DD488100 00084756
	s_mov_b64 exec, s[36:37]                                   // 000000008B54: BEFE0124
	s_mov_b64 exec, s[28:29]                                   // 000000008B58: BEFE011C
	global_atomic_pk_add_bf16 v88, v72, s[8:9]                 // 000000008B5C: DD488000 00084858
	s_mov_b64 exec, s[36:37]                                   // 000000008B64: BEFE0124
	s_mov_b64 exec, s[28:29]                                   // 000000008B68: BEFE011C
	global_atomic_pk_add_bf16 v88, v73, s[8:9] offset:256      // 000000008B6C: DD488100 00084958
	s_mov_b64 exec, s[36:37]                                   // 000000008B74: BEFE0124
	s_mov_b64 exec, s[30:31]                                   // 000000008B78: BEFE011E
	global_atomic_pk_add_bf16 v90, v74, s[8:9]                 // 000000008B7C: DD488000 00084A5A
	s_mov_b64 exec, s[36:37]                                   // 000000008B84: BEFE0124
	s_mov_b64 exec, s[30:31]                                   // 000000008B88: BEFE011E
	global_atomic_pk_add_bf16 v90, v75, s[8:9] offset:256      // 000000008B8C: DD488100 00084B5A
	s_mov_b64 exec, s[36:37]                                   // 000000008B94: BEFE0124
	s_mov_b64 exec, s[32:33]                                   // 000000008B98: BEFE0120
	global_atomic_pk_add_bf16 v92, v76, s[8:9]                 // 000000008B9C: DD488000 00084C5C
	s_mov_b64 exec, s[36:37]                                   // 000000008BA4: BEFE0124
	s_mov_b64 exec, s[32:33]                                   // 000000008BA8: BEFE0120
	global_atomic_pk_add_bf16 v92, v77, s[8:9] offset:256      // 000000008BAC: DD488100 00084D5C
	s_mov_b64 exec, s[36:37]                                   // 000000008BB4: BEFE0124
	s_mov_b64 exec, s[34:35]                                   // 000000008BB8: BEFE0122
	global_atomic_pk_add_bf16 v94, v78, s[8:9]                 // 000000008BBC: DD488000 00084E5E
	s_mov_b64 exec, s[36:37]                                   // 000000008BC4: BEFE0124
	s_mov_b64 exec, s[34:35]                                   // 000000008BC8: BEFE0122
	global_atomic_pk_add_bf16 v94, v79, s[8:9] offset:256      // 000000008BCC: DD488100 00084F5E
	s_mov_b64 exec, s[36:37]                                   // 000000008BD4: BEFE0124
	s_add_u32 s8, s59, s8                                      // 000000008BD8: 8008083B
	s_addc_u32 s9, 0, s9                                       // 000000008BDC: 82090980
	s_addk_i32 s80, 0x100                                      // 000000008BE0: B7500100
	s_cmp_lt_i32 s80, s81                                      // 000000008BE4: BF045150
	s_cbranch_scc0 label_0E16                                  // 000000008BE8: BF84F69B
	s_waitcnt vmcnt(29)                                        // 000000008BEC: BF8C4F7D
	s_barrier                                                  // 000000008BF0: BF8A0000
	v_mfma_f32_16x16x32_fp8_fp8 v[192:195], a[64:65], v[128:129], 0// 000000008BF4: D3F300C0 0A030140
	buffer_load_dwordx4 a[0:3], v36, s[12:15], 0 offen         // 000000008BFC: E05C1000 80830024
	v_mfma_f32_16x16x32_fp8_fp8 v[192:195], a[66:67], v[130:131], v[192:195]// 000000008C04: D3F300C0 0F030542
	v_mfma_f32_16x16x32_fp8_fp8 v[196:199], a[64:65], v[144:145], 0// 000000008C0C: D3F300C4 0A032140
	v_mfma_f32_16x16x32_fp8_fp8 v[196:199], a[66:67], v[146:147], v[196:199]// 000000008C14: D3F300C4 0F132542
	v_mfma_f32_16x16x32_fp8_fp8 v[200:203], a[68:69], v[128:129], 0// 000000008C1C: D3F300C8 0A030144
	buffer_load_dwordx4 a[4:7], v37, s[12:15], 0 offen         // 000000008C24: E05C1000 80830425
	v_mfma_f32_16x16x32_fp8_fp8 v[200:203], a[70:71], v[130:131], v[200:203]// 000000008C2C: D3F300C8 0F230546
	v_mfma_f32_16x16x32_fp8_fp8 v[204:207], a[68:69], v[144:145], 0// 000000008C34: D3F300CC 0A032144
	v_mfma_f32_16x16x32_fp8_fp8 v[204:207], a[70:71], v[146:147], v[204:207]// 000000008C3C: D3F300CC 0F332546
	v_mfma_f32_16x16x32_fp8_fp8 v[208:211], a[72:73], v[128:129], 0// 000000008C44: D3F300D0 0A030148
	buffer_load_dwordx4 a[8:11], v38, s[12:15], 0 offen        // 000000008C4C: E05C1000 80830826
	v_mfma_f32_16x16x32_fp8_fp8 v[208:211], a[74:75], v[130:131], v[208:211]// 000000008C54: D3F300D0 0F43054A
	v_mfma_f32_16x16x32_fp8_fp8 v[212:215], a[72:73], v[144:145], 0// 000000008C5C: D3F300D4 0A032148
	v_mfma_f32_16x16x32_fp8_fp8 v[212:215], a[74:75], v[146:147], v[212:215]// 000000008C64: D3F300D4 0F53254A
	v_mfma_f32_16x16x32_fp8_fp8 v[216:219], a[76:77], v[128:129], 0// 000000008C6C: D3F300D8 0A03014C
	buffer_load_dwordx4 a[12:15], v39, s[12:15], 0 offen       // 000000008C74: E05C1000 80830C27
	s_add_u32 s12, s78, s12                                    // 000000008C7C: 800C0C4E
	s_addc_u32 s13, 0, s13                                     // 000000008C80: 820D0D80
	v_mfma_f32_16x16x32_fp8_fp8 v[216:219], a[78:79], v[130:131], v[216:219]// 000000008C84: D3F300D8 0F63054E
	v_mfma_f32_16x16x32_fp8_fp8 v[220:223], a[76:77], v[144:145], 0// 000000008C8C: D3F300DC 0A03214C
	v_mfma_f32_16x16x32_fp8_fp8 v[220:223], a[78:79], v[146:147], v[220:223]// 000000008C94: D3F300DC 0F73254E
	s_waitcnt vmcnt(29)                                        // 000000008C9C: BF8C4F7D
	v_mfma_f32_16x16x32_fp8_fp8 v[192:195], a[80:81], v[132:133], v[192:195]// 000000008CA0: D3F300C0 0F030950
	buffer_load_dwordx4 a[16:19], v36, s[12:15], 0 offen       // 000000008CA8: E05C1000 80831024
	v_mfma_f32_16x16x32_fp8_fp8 v[192:195], a[82:83], v[134:135], v[192:195]// 000000008CB0: D3F300C0 0F030D52
	v_mfma_f32_16x16x32_fp8_fp8 v[196:199], a[80:81], v[148:149], v[196:199]// 000000008CB8: D3F300C4 0F132950
	v_mfma_f32_16x16x32_fp8_fp8 v[196:199], a[82:83], v[150:151], v[196:199]// 000000008CC0: D3F300C4 0F132D52
	v_mfma_f32_16x16x32_fp8_fp8 v[200:203], a[84:85], v[132:133], v[200:203]// 000000008CC8: D3F300C8 0F230954
	buffer_load_dwordx4 a[20:23], v37, s[12:15], 0 offen       // 000000008CD0: E05C1000 80831425
	v_mfma_f32_16x16x32_fp8_fp8 v[200:203], a[86:87], v[134:135], v[200:203]// 000000008CD8: D3F300C8 0F230D56
	v_mfma_f32_16x16x32_fp8_fp8 v[204:207], a[84:85], v[148:149], v[204:207]// 000000008CE0: D3F300CC 0F332954
	v_mfma_f32_16x16x32_fp8_fp8 v[204:207], a[86:87], v[150:151], v[204:207]// 000000008CE8: D3F300CC 0F332D56
	v_mfma_f32_16x16x32_fp8_fp8 v[208:211], a[88:89], v[132:133], v[208:211]// 000000008CF0: D3F300D0 0F430958
	buffer_load_dwordx4 a[24:27], v38, s[12:15], 0 offen       // 000000008CF8: E05C1000 80831826
	v_mfma_f32_16x16x32_fp8_fp8 v[208:211], a[90:91], v[134:135], v[208:211]// 000000008D00: D3F300D0 0F430D5A
	v_mfma_f32_16x16x32_fp8_fp8 v[212:215], a[88:89], v[148:149], v[212:215]// 000000008D08: D3F300D4 0F532958
	v_mfma_f32_16x16x32_fp8_fp8 v[212:215], a[90:91], v[150:151], v[212:215]// 000000008D10: D3F300D4 0F532D5A
	v_mfma_f32_16x16x32_fp8_fp8 v[216:219], a[92:93], v[132:133], v[216:219]// 000000008D18: D3F300D8 0F63095C
	buffer_load_dwordx4 a[28:31], v39, s[12:15], 0 offen       // 000000008D20: E05C1000 80831C27
	s_add_u32 s12, s78, s12                                    // 000000008D28: 800C0C4E
	s_addc_u32 s13, 0, s13                                     // 000000008D2C: 820D0D80
	v_mfma_f32_16x16x32_fp8_fp8 v[216:219], a[94:95], v[134:135], v[216:219]// 000000008D30: D3F300D8 0F630D5E
	v_mfma_f32_16x16x32_fp8_fp8 v[220:223], a[92:93], v[148:149], v[220:223]// 000000008D38: D3F300DC 0F73295C
	v_mfma_f32_16x16x32_fp8_fp8 v[220:223], a[94:95], v[150:151], v[220:223]// 000000008D40: D3F300DC 0F732D5E
	s_waitcnt vmcnt(29)                                        // 000000008D48: BF8C4F7D
	v_mfma_f32_16x16x32_fp8_fp8 v[192:195], a[96:97], v[136:137], v[192:195]// 000000008D4C: D3F300C0 0F031160
	buffer_load_dwordx4 a[32:35], v36, s[12:15], 0 offen       // 000000008D54: E05C1000 80832024
	v_mfma_f32_16x16x32_fp8_fp8 v[192:195], a[98:99], v[138:139], v[192:195]// 000000008D5C: D3F300C0 0F031562
	v_mfma_f32_16x16x32_fp8_fp8 v[196:199], a[96:97], v[152:153], v[196:199]// 000000008D64: D3F300C4 0F133160
	v_mfma_f32_16x16x32_fp8_fp8 v[196:199], a[98:99], v[154:155], v[196:199]// 000000008D6C: D3F300C4 0F133562
	v_mfma_f32_16x16x32_fp8_fp8 v[200:203], a[100:101], v[136:137], v[200:203]// 000000008D74: D3F300C8 0F231164
	buffer_load_dwordx4 a[36:39], v37, s[12:15], 0 offen       // 000000008D7C: E05C1000 80832425
	v_mfma_f32_16x16x32_fp8_fp8 v[200:203], a[102:103], v[138:139], v[200:203]// 000000008D84: D3F300C8 0F231566
	v_mfma_f32_16x16x32_fp8_fp8 v[204:207], a[100:101], v[152:153], v[204:207]// 000000008D8C: D3F300CC 0F333164
	v_mfma_f32_16x16x32_fp8_fp8 v[204:207], a[102:103], v[154:155], v[204:207]// 000000008D94: D3F300CC 0F333566
	v_mfma_f32_16x16x32_fp8_fp8 v[208:211], a[104:105], v[136:137], v[208:211]// 000000008D9C: D3F300D0 0F431168
	buffer_load_dwordx4 a[40:43], v38, s[12:15], 0 offen       // 000000008DA4: E05C1000 80832826
	v_mfma_f32_16x16x32_fp8_fp8 v[208:211], a[106:107], v[138:139], v[208:211]// 000000008DAC: D3F300D0 0F43156A
	v_mfma_f32_16x16x32_fp8_fp8 v[212:215], a[104:105], v[152:153], v[212:215]// 000000008DB4: D3F300D4 0F533168
	v_mfma_f32_16x16x32_fp8_fp8 v[212:215], a[106:107], v[154:155], v[212:215]// 000000008DBC: D3F300D4 0F53356A
	v_mfma_f32_16x16x32_fp8_fp8 v[216:219], a[108:109], v[136:137], v[216:219]// 000000008DC4: D3F300D8 0F63116C
	buffer_load_dwordx4 a[44:47], v39, s[12:15], 0 offen       // 000000008DCC: E05C1000 80832C27
	s_add_u32 s12, s78, s12                                    // 000000008DD4: 800C0C4E
	s_addc_u32 s13, 0, s13                                     // 000000008DD8: 820D0D80
	v_mfma_f32_16x16x32_fp8_fp8 v[216:219], a[110:111], v[138:139], v[216:219]// 000000008DDC: D3F300D8 0F63156E
	v_mfma_f32_16x16x32_fp8_fp8 v[220:223], a[108:109], v[152:153], v[220:223]// 000000008DE4: D3F300DC 0F73316C
	v_mfma_f32_16x16x32_fp8_fp8 v[220:223], a[110:111], v[154:155], v[220:223]// 000000008DEC: D3F300DC 0F73356E
	s_waitcnt vmcnt(28)                                        // 000000008DF4: BF8C4F7C
	v_mfma_f32_16x16x32_fp8_fp8 v[192:195], a[112:113], v[140:141], v[192:195]// 000000008DF8: D3F300C0 0F031970
	buffer_load_dwordx4 a[48:51], v36, s[12:15], 0 offen       // 000000008E00: E05C1000 80833024
	v_mfma_f32_16x16x32_fp8_fp8 v[192:195], a[114:115], v[142:143], v[192:195]// 000000008E08: D3F300C0 0F031D72
	v_mfma_f32_16x16x32_fp8_fp8 v[196:199], a[112:113], v[156:157], v[196:199]// 000000008E10: D3F300C4 0F133970
	buffer_load_dword v11, v5, s[16:19], 0 offen               // 000000008E18: E0501000 80040B05
	v_mfma_f32_16x16x32_fp8_fp8 v[196:199], a[114:115], v[158:159], v[196:199]// 000000008E20: D3F300C4 0F133D72
	v_mfma_f32_16x16x32_fp8_fp8 v[200:203], a[116:117], v[140:141], v[200:203]// 000000008E28: D3F300C8 0F231974
	buffer_load_dwordx4 a[52:55], v37, s[12:15], 0 offen       // 000000008E30: E05C1000 80833425
	v_mfma_f32_16x16x32_fp8_fp8 v[200:203], a[118:119], v[142:143], v[200:203]// 000000008E38: D3F300C8 0F231D76
	v_mfma_f32_16x16x32_fp8_fp8 v[204:207], a[116:117], v[156:157], v[204:207]// 000000008E40: D3F300CC 0F333974
	v_mfma_f32_16x16x32_fp8_fp8 v[204:207], a[118:119], v[158:159], v[204:207]// 000000008E48: D3F300CC 0F333D76
	v_mfma_f32_16x16x32_fp8_fp8 v[208:211], a[120:121], v[140:141], v[208:211]// 000000008E50: D3F300D0 0F431978
	buffer_load_dwordx4 a[56:59], v38, s[12:15], 0 offen       // 000000008E58: E05C1000 80833826
	v_mfma_f32_16x16x32_fp8_fp8 v[208:211], a[122:123], v[142:143], v[208:211]// 000000008E60: D3F300D0 0F431D7A
	v_mfma_f32_16x16x32_fp8_fp8 v[212:215], a[120:121], v[156:157], v[212:215]// 000000008E68: D3F300D4 0F533978
	v_mfma_f32_16x16x32_fp8_fp8 v[212:215], a[122:123], v[158:159], v[212:215]// 000000008E70: D3F300D4 0F533D7A
	v_mfma_f32_16x16x32_fp8_fp8 v[216:219], a[124:125], v[140:141], v[216:219]// 000000008E78: D3F300D8 0F63197C
	buffer_load_dwordx4 a[60:63], v39, s[12:15], 0 offen       // 000000008E80: E05C1000 80833C27
	v_mfma_f32_16x16x32_fp8_fp8 v[216:219], a[126:127], v[142:143], v[216:219]// 000000008E88: D3F300D8 0F631D7E
	v_mfma_f32_16x16x32_fp8_fp8 v[220:223], a[124:125], v[156:157], v[220:223]// 000000008E90: D3F300DC 0F73397C
	v_mfma_f32_16x16x32_fp8_fp8 v[220:223], a[126:127], v[158:159], v[220:223]// 000000008E98: D3F300DC 0F733D7E
	s_add_u32 s60, 0x200, s80                                  // 000000008EA0: 803C50FF 00000200
	s_cmp_lt_u32 s60, s81                                      // 000000008EA8: BF0A513C
	s_cselect_b32 s56, s56, 0                                  // 000000008EAC: 85388038
	s_cselect_b32 s78, s78, 0                                  // 000000008EB0: 854E804E
	s_cselect_b32 s79, s79, 0                                  // 000000008EB4: 854F804F
	s_add_u32 s12, s56, s12                                    // 000000008EB8: 800C0C38
	s_addc_u32 s13, 0, s13                                     // 000000008EBC: 820D0D80
	s_add_u32 s16, s79, s16                                    // 000000008EC0: 8010104F
	s_addc_u32 s17, 0, s17                                     // 000000008EC4: 82111180
	v_mul_f32_e32 v192, v22, v192                              // 000000008EC8: 0B818116
	v_mul_f32_e32 v193, v22, v193                              // 000000008ECC: 0B838316
	v_mul_f32_e32 v194, v22, v194                              // 000000008ED0: 0B858516
	v_mul_f32_e32 v195, v22, v195                              // 000000008ED4: 0B878716
	v_mul_f32_dpp v192, v12, v192 row_newbcast:0 row_mask:0xf bank_mask:0xf// 000000008ED8: 0B8180FA FF01500C
	v_mul_f32_dpp v193, v12, v193 row_newbcast:1 row_mask:0xf bank_mask:0xf// 000000008EE0: 0B8382FA FF01510C
	v_mul_f32_dpp v194, v12, v194 row_newbcast:2 row_mask:0xf bank_mask:0xf// 000000008EE8: 0B8584FA FF01520C
	v_mul_f32_dpp v195, v12, v195 row_newbcast:3 row_mask:0xf bank_mask:0xf// 000000008EF0: 0B8786FA FF01530C
	v_mul_f32_e32 v196, v23, v196                              // 000000008EF8: 0B898917
	v_mul_f32_e32 v197, v23, v197                              // 000000008EFC: 0B8B8B17
	v_mul_f32_e32 v198, v23, v198                              // 000000008F00: 0B8D8D17
	v_mul_f32_e32 v199, v23, v199                              // 000000008F04: 0B8F8F17
	v_mul_f32_dpp v196, v12, v196 row_newbcast:0 row_mask:0xf bank_mask:0xf// 000000008F08: 0B8988FA FF01500C
	v_mul_f32_dpp v197, v12, v197 row_newbcast:1 row_mask:0xf bank_mask:0xf// 000000008F10: 0B8B8AFA FF01510C
	v_mul_f32_dpp v198, v12, v198 row_newbcast:2 row_mask:0xf bank_mask:0xf// 000000008F18: 0B8D8CFA FF01520C
	v_mul_f32_dpp v199, v12, v199 row_newbcast:3 row_mask:0xf bank_mask:0xf// 000000008F20: 0B8F8EFA FF01530C
	v_mul_f32_e32 v200, v22, v200                              // 000000008F28: 0B919116
	v_mul_f32_e32 v201, v22, v201                              // 000000008F2C: 0B939316
	v_mul_f32_e32 v202, v22, v202                              // 000000008F30: 0B959516
	v_mul_f32_e32 v203, v22, v203                              // 000000008F34: 0B979716
	v_mul_f32_dpp v200, v12, v200 row_newbcast:4 row_mask:0xf bank_mask:0xf// 000000008F38: 0B9190FA FF01540C
	v_mul_f32_dpp v201, v12, v201 row_newbcast:5 row_mask:0xf bank_mask:0xf// 000000008F40: 0B9392FA FF01550C
	v_mul_f32_dpp v202, v12, v202 row_newbcast:6 row_mask:0xf bank_mask:0xf// 000000008F48: 0B9594FA FF01560C
	v_mul_f32_dpp v203, v12, v203 row_newbcast:7 row_mask:0xf bank_mask:0xf// 000000008F50: 0B9796FA FF01570C
	v_mul_f32_e32 v204, v23, v204                              // 000000008F58: 0B999917
	v_mul_f32_e32 v205, v23, v205                              // 000000008F5C: 0B9B9B17
	v_mul_f32_e32 v206, v23, v206                              // 000000008F60: 0B9D9D17
	v_mul_f32_e32 v207, v23, v207                              // 000000008F64: 0B9F9F17
	v_mul_f32_dpp v204, v12, v204 row_newbcast:4 row_mask:0xf bank_mask:0xf// 000000008F68: 0B9998FA FF01540C
	v_mul_f32_dpp v205, v12, v205 row_newbcast:5 row_mask:0xf bank_mask:0xf// 000000008F70: 0B9B9AFA FF01550C
	v_mul_f32_dpp v206, v12, v206 row_newbcast:6 row_mask:0xf bank_mask:0xf// 000000008F78: 0B9D9CFA FF01560C
	v_mul_f32_dpp v207, v12, v207 row_newbcast:7 row_mask:0xf bank_mask:0xf// 000000008F80: 0B9F9EFA FF01570C
	v_mul_f32_e32 v208, v22, v208                              // 000000008F88: 0BA1A116
	v_mul_f32_e32 v209, v22, v209                              // 000000008F8C: 0BA3A316
	v_mul_f32_e32 v210, v22, v210                              // 000000008F90: 0BA5A516
	v_mul_f32_e32 v211, v22, v211                              // 000000008F94: 0BA7A716
	v_mul_f32_dpp v208, v12, v208 row_newbcast:8 row_mask:0xf bank_mask:0xf// 000000008F98: 0BA1A0FA FF01580C
	v_mul_f32_dpp v209, v12, v209 row_newbcast:9 row_mask:0xf bank_mask:0xf// 000000008FA0: 0BA3A2FA FF01590C
	v_mul_f32_dpp v210, v12, v210 row_newbcast:10 row_mask:0xf bank_mask:0xf// 000000008FA8: 0BA5A4FA FF015A0C
	v_mul_f32_dpp v211, v12, v211 row_newbcast:11 row_mask:0xf bank_mask:0xf// 000000008FB0: 0BA7A6FA FF015B0C
	v_mul_f32_e32 v212, v23, v212                              // 000000008FB8: 0BA9A917
	v_mul_f32_e32 v213, v23, v213                              // 000000008FBC: 0BABAB17
	v_mul_f32_e32 v214, v23, v214                              // 000000008FC0: 0BADAD17
	v_mul_f32_e32 v215, v23, v215                              // 000000008FC4: 0BAFAF17
	v_mul_f32_dpp v212, v12, v212 row_newbcast:8 row_mask:0xf bank_mask:0xf// 000000008FC8: 0BA9A8FA FF01580C
	v_mul_f32_dpp v213, v12, v213 row_newbcast:9 row_mask:0xf bank_mask:0xf// 000000008FD0: 0BABAAFA FF01590C
	v_mul_f32_dpp v214, v12, v214 row_newbcast:10 row_mask:0xf bank_mask:0xf// 000000008FD8: 0BADACFA FF015A0C
	v_mul_f32_dpp v215, v12, v215 row_newbcast:11 row_mask:0xf bank_mask:0xf// 000000008FE0: 0BAFAEFA FF015B0C
	v_mul_f32_e32 v216, v22, v216                              // 000000008FE8: 0BB1B116
	v_mul_f32_e32 v217, v22, v217                              // 000000008FEC: 0BB3B316
	v_mul_f32_e32 v218, v22, v218                              // 000000008FF0: 0BB5B516
	v_mul_f32_e32 v219, v22, v219                              // 000000008FF4: 0BB7B716
	v_mul_f32_dpp v216, v12, v216 row_newbcast:12 row_mask:0xf bank_mask:0xf// 000000008FF8: 0BB1B0FA FF015C0C
	v_mul_f32_dpp v217, v12, v217 row_newbcast:13 row_mask:0xf bank_mask:0xf// 000000009000: 0BB3B2FA FF015D0C
	v_mul_f32_dpp v218, v12, v218 row_newbcast:14 row_mask:0xf bank_mask:0xf// 000000009008: 0BB5B4FA FF015E0C
	v_mul_f32_dpp v219, v12, v219 row_newbcast:15 row_mask:0xf bank_mask:0xf// 000000009010: 0BB7B6FA FF015F0C
	v_mul_f32_e32 v220, v23, v220                              // 000000009018: 0BB9B917
	v_mul_f32_e32 v221, v23, v221                              // 00000000901C: 0BBBBB17
	v_mul_f32_e32 v222, v23, v222                              // 000000009020: 0BBDBD17
	v_mul_f32_e32 v223, v23, v223                              // 000000009024: 0BBFBF17
	v_mul_f32_dpp v220, v12, v220 row_newbcast:12 row_mask:0xf bank_mask:0xf// 000000009028: 0BB9B8FA FF015C0C
	v_mul_f32_dpp v221, v12, v221 row_newbcast:13 row_mask:0xf bank_mask:0xf// 000000009030: 0BBBBAFA FF015D0C
	v_mul_f32_dpp v222, v12, v222 row_newbcast:14 row_mask:0xf bank_mask:0xf// 000000009038: 0BBDBCFA FF015E0C
	v_mul_f32_dpp v223, v12, v223 row_newbcast:15 row_mask:0xf bank_mask:0xf// 000000009040: 0BBFBEFA FF015F0C
	v_cmp_u_f32_e64 s[48:49], v192, v192                       // 000000009048: D0480030 000381C0
	v_add3_u32 v40, v192, v43, 1                               // 000000009050: D1FF0028 020657C0
	v_cndmask_b32_e64 v46, v40, v42, s[48:49]                  // 000000009058: D100002E 00C25528
	v_cmp_u_f32_e64 s[48:49], v193, v193                       // 000000009060: D0480030 000383C1
	v_add3_u32 v40, v193, v43, 1                               // 000000009068: D1FF0028 020657C1
	v_cndmask_b32_e64 v47, v40, v42, s[48:49]                  // 000000009070: D100002F 00C25528
	v_perm_b32 v192, v47, v46, s52                             // 000000009078: D1ED00C0 00D25D2F
	v_cmp_u_f32_e64 s[48:49], v194, v194                       // 000000009080: D0480030 000385C2
	v_add3_u32 v40, v194, v43, 1                               // 000000009088: D1FF0028 020657C2
	v_cndmask_b32_e64 v46, v40, v42, s[48:49]                  // 000000009090: D100002E 00C25528
	v_cmp_u_f32_e64 s[48:49], v195, v195                       // 000000009098: D0480030 000387C3
	v_add3_u32 v40, v195, v43, 1                               // 0000000090A0: D1FF0028 020657C3
	v_cndmask_b32_e64 v47, v40, v42, s[48:49]                  // 0000000090A8: D100002F 00C25528
	v_perm_b32 v193, v47, v46, s52                             // 0000000090B0: D1ED00C1 00D25D2F
	v_cmp_u_f32_e64 s[48:49], v196, v196                       // 0000000090B8: D0480030 000389C4
	v_add3_u32 v40, v196, v43, 1                               // 0000000090C0: D1FF0028 020657C4
	v_cndmask_b32_e64 v46, v40, v42, s[48:49]                  // 0000000090C8: D100002E 00C25528
	v_cmp_u_f32_e64 s[48:49], v197, v197                       // 0000000090D0: D0480030 00038BC5
	v_add3_u32 v40, v197, v43, 1                               // 0000000090D8: D1FF0028 020657C5
	v_cndmask_b32_e64 v47, v40, v42, s[48:49]                  // 0000000090E0: D100002F 00C25528
	v_perm_b32 v194, v47, v46, s52                             // 0000000090E8: D1ED00C2 00D25D2F
	v_cmp_u_f32_e64 s[48:49], v198, v198                       // 0000000090F0: D0480030 00038DC6
	v_add3_u32 v40, v198, v43, 1                               // 0000000090F8: D1FF0028 020657C6
	v_cndmask_b32_e64 v46, v40, v42, s[48:49]                  // 000000009100: D100002E 00C25528
	v_cmp_u_f32_e64 s[48:49], v199, v199                       // 000000009108: D0480030 00038FC7
	v_add3_u32 v40, v199, v43, 1                               // 000000009110: D1FF0028 020657C7
	v_cndmask_b32_e64 v47, v40, v42, s[48:49]                  // 000000009118: D100002F 00C25528
	v_perm_b32 v195, v47, v46, s52                             // 000000009120: D1ED00C3 00D25D2F
	v_cmp_u_f32_e64 s[48:49], v200, v200                       // 000000009128: D0480030 000391C8
	v_add3_u32 v40, v200, v43, 1                               // 000000009130: D1FF0028 020657C8
	v_cndmask_b32_e64 v46, v40, v42, s[48:49]                  // 000000009138: D100002E 00C25528
	v_cmp_u_f32_e64 s[48:49], v201, v201                       // 000000009140: D0480030 000393C9
	v_add3_u32 v40, v201, v43, 1                               // 000000009148: D1FF0028 020657C9
	v_cndmask_b32_e64 v47, v40, v42, s[48:49]                  // 000000009150: D100002F 00C25528
	v_perm_b32 v196, v47, v46, s52                             // 000000009158: D1ED00C4 00D25D2F
	v_cmp_u_f32_e64 s[48:49], v202, v202                       // 000000009160: D0480030 000395CA
	v_add3_u32 v40, v202, v43, 1                               // 000000009168: D1FF0028 020657CA
	v_cndmask_b32_e64 v46, v40, v42, s[48:49]                  // 000000009170: D100002E 00C25528
	v_cmp_u_f32_e64 s[48:49], v203, v203                       // 000000009178: D0480030 000397CB
	v_add3_u32 v40, v203, v43, 1                               // 000000009180: D1FF0028 020657CB
	v_cndmask_b32_e64 v47, v40, v42, s[48:49]                  // 000000009188: D100002F 00C25528
	v_perm_b32 v197, v47, v46, s52                             // 000000009190: D1ED00C5 00D25D2F
	v_cmp_u_f32_e64 s[48:49], v204, v204                       // 000000009198: D0480030 000399CC
	v_add3_u32 v40, v204, v43, 1                               // 0000000091A0: D1FF0028 020657CC
	v_cndmask_b32_e64 v46, v40, v42, s[48:49]                  // 0000000091A8: D100002E 00C25528
	v_cmp_u_f32_e64 s[48:49], v205, v205                       // 0000000091B0: D0480030 00039BCD
	v_add3_u32 v40, v205, v43, 1                               // 0000000091B8: D1FF0028 020657CD
	v_cndmask_b32_e64 v47, v40, v42, s[48:49]                  // 0000000091C0: D100002F 00C25528
	v_perm_b32 v198, v47, v46, s52                             // 0000000091C8: D1ED00C6 00D25D2F
	v_cmp_u_f32_e64 s[48:49], v206, v206                       // 0000000091D0: D0480030 00039DCE
	v_add3_u32 v40, v206, v43, 1                               // 0000000091D8: D1FF0028 020657CE
	v_cndmask_b32_e64 v46, v40, v42, s[48:49]                  // 0000000091E0: D100002E 00C25528
	v_cmp_u_f32_e64 s[48:49], v207, v207                       // 0000000091E8: D0480030 00039FCF
	v_add3_u32 v40, v207, v43, 1                               // 0000000091F0: D1FF0028 020657CF
	v_cndmask_b32_e64 v47, v40, v42, s[48:49]                  // 0000000091F8: D100002F 00C25528
	v_perm_b32 v199, v47, v46, s52                             // 000000009200: D1ED00C7 00D25D2F
	v_cmp_u_f32_e64 s[48:49], v208, v208                       // 000000009208: D0480030 0003A1D0
	v_add3_u32 v40, v208, v43, 1                               // 000000009210: D1FF0028 020657D0
	v_cndmask_b32_e64 v46, v40, v42, s[48:49]                  // 000000009218: D100002E 00C25528
	v_cmp_u_f32_e64 s[48:49], v209, v209                       // 000000009220: D0480030 0003A3D1
	v_add3_u32 v40, v209, v43, 1                               // 000000009228: D1FF0028 020657D1
	v_cndmask_b32_e64 v47, v40, v42, s[48:49]                  // 000000009230: D100002F 00C25528
	v_perm_b32 v200, v47, v46, s52                             // 000000009238: D1ED00C8 00D25D2F
	v_cmp_u_f32_e64 s[48:49], v210, v210                       // 000000009240: D0480030 0003A5D2
	v_add3_u32 v40, v210, v43, 1                               // 000000009248: D1FF0028 020657D2
	v_cndmask_b32_e64 v46, v40, v42, s[48:49]                  // 000000009250: D100002E 00C25528
	v_cmp_u_f32_e64 s[48:49], v211, v211                       // 000000009258: D0480030 0003A7D3
	v_add3_u32 v40, v211, v43, 1                               // 000000009260: D1FF0028 020657D3
	v_cndmask_b32_e64 v47, v40, v42, s[48:49]                  // 000000009268: D100002F 00C25528
	v_perm_b32 v201, v47, v46, s52                             // 000000009270: D1ED00C9 00D25D2F
	v_cmp_u_f32_e64 s[48:49], v212, v212                       // 000000009278: D0480030 0003A9D4
	v_add3_u32 v40, v212, v43, 1                               // 000000009280: D1FF0028 020657D4
	v_cndmask_b32_e64 v46, v40, v42, s[48:49]                  // 000000009288: D100002E 00C25528
	v_cmp_u_f32_e64 s[48:49], v213, v213                       // 000000009290: D0480030 0003ABD5
	v_add3_u32 v40, v213, v43, 1                               // 000000009298: D1FF0028 020657D5
	v_cndmask_b32_e64 v47, v40, v42, s[48:49]                  // 0000000092A0: D100002F 00C25528
	v_perm_b32 v202, v47, v46, s52                             // 0000000092A8: D1ED00CA 00D25D2F
	v_cmp_u_f32_e64 s[48:49], v214, v214                       // 0000000092B0: D0480030 0003ADD6
	v_add3_u32 v40, v214, v43, 1                               // 0000000092B8: D1FF0028 020657D6
	v_cndmask_b32_e64 v46, v40, v42, s[48:49]                  // 0000000092C0: D100002E 00C25528
	v_cmp_u_f32_e64 s[48:49], v215, v215                       // 0000000092C8: D0480030 0003AFD7
	v_add3_u32 v40, v215, v43, 1                               // 0000000092D0: D1FF0028 020657D7
	v_cndmask_b32_e64 v47, v40, v42, s[48:49]                  // 0000000092D8: D100002F 00C25528
	v_perm_b32 v203, v47, v46, s52                             // 0000000092E0: D1ED00CB 00D25D2F
	v_cmp_u_f32_e64 s[48:49], v216, v216                       // 0000000092E8: D0480030 0003B1D8
	v_add3_u32 v40, v216, v43, 1                               // 0000000092F0: D1FF0028 020657D8
	v_cndmask_b32_e64 v46, v40, v42, s[48:49]                  // 0000000092F8: D100002E 00C25528
	v_cmp_u_f32_e64 s[48:49], v217, v217                       // 000000009300: D0480030 0003B3D9
	v_add3_u32 v40, v217, v43, 1                               // 000000009308: D1FF0028 020657D9
	v_cndmask_b32_e64 v47, v40, v42, s[48:49]                  // 000000009310: D100002F 00C25528
	v_perm_b32 v204, v47, v46, s52                             // 000000009318: D1ED00CC 00D25D2F
	v_cmp_u_f32_e64 s[48:49], v218, v218                       // 000000009320: D0480030 0003B5DA
	v_add3_u32 v40, v218, v43, 1                               // 000000009328: D1FF0028 020657DA
	v_cndmask_b32_e64 v46, v40, v42, s[48:49]                  // 000000009330: D100002E 00C25528
	v_cmp_u_f32_e64 s[48:49], v219, v219                       // 000000009338: D0480030 0003B7DB
	v_add3_u32 v40, v219, v43, 1                               // 000000009340: D1FF0028 020657DB
	v_cndmask_b32_e64 v47, v40, v42, s[48:49]                  // 000000009348: D100002F 00C25528
	v_perm_b32 v205, v47, v46, s52                             // 000000009350: D1ED00CD 00D25D2F
	v_cmp_u_f32_e64 s[48:49], v220, v220                       // 000000009358: D0480030 0003B9DC
	v_add3_u32 v40, v220, v43, 1                               // 000000009360: D1FF0028 020657DC
	v_cndmask_b32_e64 v46, v40, v42, s[48:49]                  // 000000009368: D100002E 00C25528
	v_cmp_u_f32_e64 s[48:49], v221, v221                       // 000000009370: D0480030 0003BBDD
	v_add3_u32 v40, v221, v43, 1                               // 000000009378: D1FF0028 020657DD
	v_cndmask_b32_e64 v47, v40, v42, s[48:49]                  // 000000009380: D100002F 00C25528
	v_perm_b32 v206, v47, v46, s52                             // 000000009388: D1ED00CE 00D25D2F
	v_cmp_u_f32_e64 s[48:49], v222, v222                       // 000000009390: D0480030 0003BDDE
	v_add3_u32 v40, v222, v43, 1                               // 000000009398: D1FF0028 020657DE
	v_cndmask_b32_e64 v46, v40, v42, s[48:49]                  // 0000000093A0: D100002E 00C25528
	v_cmp_u_f32_e64 s[48:49], v223, v223                       // 0000000093A8: D0480030 0003BFDF
	v_add3_u32 v40, v223, v43, 1                               // 0000000093B0: D1FF0028 020657DF
	v_cndmask_b32_e64 v47, v40, v42, s[48:49]                  // 0000000093B8: D100002F 00C25528
	v_perm_b32 v207, v47, v46, s52                             // 0000000093C0: D1ED00CF 00D25D2F
	ds_write_b64 v3, v[192:193] offset:26880                   // 0000000093C8: D89A6900 0000C003
	ds_write_b64 v3, v[194:195] offset:35584                   // 0000000093D0: D89A8B00 0000C203
	ds_write_b64 v3, v[196:197] offset:29056                   // 0000000093D8: D89A7180 0000C403
	ds_write_b64 v3, v[198:199] offset:37760                   // 0000000093E0: D89A9380 0000C603
	ds_write_b64 v3, v[200:201] offset:31232                   // 0000000093E8: D89A7A00 0000C803
	ds_write_b64 v3, v[202:203] offset:39936                   // 0000000093F0: D89A9C00 0000CA03
	ds_write_b64 v3, v[204:205] offset:33408                   // 0000000093F8: D89A8280 0000CC03
	ds_write_b64 v3, v[206:207] offset:42112                   // 000000009400: D89AA480 0000CE03
	s_waitcnt lgkmcnt(0)                                       // 000000009408: BF8CC07F
	s_barrier                                                  // 00000000940C: BF8A0000
	ds_read_b32 v64, v4 offset:26880                           // 000000009410: D86C6900 40000004
	ds_read_b32 v65, v4 offset:31232                           // 000000009418: D86C7A00 41000004
	ds_read_b32 v66, v4 offset:26912                           // 000000009420: D86C6920 42000004
	ds_read_b32 v67, v4 offset:31264                           // 000000009428: D86C7A20 43000004
	ds_read_b32 v68, v4 offset:26944                           // 000000009430: D86C6940 44000004
	ds_read_b32 v69, v4 offset:31296                           // 000000009438: D86C7A40 45000004
	ds_read_b32 v70, v4 offset:26976                           // 000000009440: D86C6960 46000004
	ds_read_b32 v71, v4 offset:31328                           // 000000009448: D86C7A60 47000004
	ds_read_b32 v72, v4 offset:35584                           // 000000009450: D86C8B00 48000004
	ds_read_b32 v73, v4 offset:39936                           // 000000009458: D86C9C00 49000004
	ds_read_b32 v74, v4 offset:35616                           // 000000009460: D86C8B20 4A000004
	ds_read_b32 v75, v4 offset:39968                           // 000000009468: D86C9C20 4B000004
	ds_read_b32 v76, v4 offset:35648                           // 000000009470: D86C8B40 4C000004
	ds_read_b32 v77, v4 offset:40000                           // 000000009478: D86C9C40 4D000004
	ds_read_b32 v78, v4 offset:35680                           // 000000009480: D86C8B60 4E000004
	ds_read_b32 v79, v4 offset:40032                           // 000000009488: D86C9C60 4F000004
	s_waitcnt lgkmcnt(0)                                       // 000000009490: BF8CC07F
	s_mov_b64 exec, s[20:21]                                   // 000000009494: BEFE0114
	global_atomic_pk_add_bf16 v80, v64, s[8:9]                 // 000000009498: DD488000 00084050
	s_mov_b64 exec, s[36:37]                                   // 0000000094A0: BEFE0124
	s_mov_b64 exec, s[20:21]                                   // 0000000094A4: BEFE0114
	global_atomic_pk_add_bf16 v80, v65, s[8:9] offset:256      // 0000000094A8: DD488100 00084150
	s_mov_b64 exec, s[36:37]                                   // 0000000094B0: BEFE0124
	s_mov_b64 exec, s[22:23]                                   // 0000000094B4: BEFE0116
	global_atomic_pk_add_bf16 v82, v66, s[8:9]                 // 0000000094B8: DD488000 00084252
	s_mov_b64 exec, s[36:37]                                   // 0000000094C0: BEFE0124
	s_mov_b64 exec, s[22:23]                                   // 0000000094C4: BEFE0116
	global_atomic_pk_add_bf16 v82, v67, s[8:9] offset:256      // 0000000094C8: DD488100 00084352
	s_mov_b64 exec, s[36:37]                                   // 0000000094D0: BEFE0124
	s_mov_b64 exec, s[24:25]                                   // 0000000094D4: BEFE0118
	global_atomic_pk_add_bf16 v84, v68, s[8:9]                 // 0000000094D8: DD488000 00084454
	s_mov_b64 exec, s[36:37]                                   // 0000000094E0: BEFE0124
	s_mov_b64 exec, s[24:25]                                   // 0000000094E4: BEFE0118
	global_atomic_pk_add_bf16 v84, v69, s[8:9] offset:256      // 0000000094E8: DD488100 00084554
	s_mov_b64 exec, s[36:37]                                   // 0000000094F0: BEFE0124
	s_mov_b64 exec, s[26:27]                                   // 0000000094F4: BEFE011A
	global_atomic_pk_add_bf16 v86, v70, s[8:9]                 // 0000000094F8: DD488000 00084656
	s_mov_b64 exec, s[36:37]                                   // 000000009500: BEFE0124
	s_mov_b64 exec, s[26:27]                                   // 000000009504: BEFE011A
	global_atomic_pk_add_bf16 v86, v71, s[8:9] offset:256      // 000000009508: DD488100 00084756
	s_mov_b64 exec, s[36:37]                                   // 000000009510: BEFE0124
	s_mov_b64 exec, s[28:29]                                   // 000000009514: BEFE011C
	global_atomic_pk_add_bf16 v88, v72, s[8:9]                 // 000000009518: DD488000 00084858
	s_mov_b64 exec, s[36:37]                                   // 000000009520: BEFE0124
	s_mov_b64 exec, s[28:29]                                   // 000000009524: BEFE011C
	global_atomic_pk_add_bf16 v88, v73, s[8:9] offset:256      // 000000009528: DD488100 00084958
	s_mov_b64 exec, s[36:37]                                   // 000000009530: BEFE0124
	s_mov_b64 exec, s[30:31]                                   // 000000009534: BEFE011E
	global_atomic_pk_add_bf16 v90, v74, s[8:9]                 // 000000009538: DD488000 00084A5A
	s_mov_b64 exec, s[36:37]                                   // 000000009540: BEFE0124
	s_mov_b64 exec, s[30:31]                                   // 000000009544: BEFE011E
	global_atomic_pk_add_bf16 v90, v75, s[8:9] offset:256      // 000000009548: DD488100 00084B5A
	s_mov_b64 exec, s[36:37]                                   // 000000009550: BEFE0124
	s_mov_b64 exec, s[32:33]                                   // 000000009554: BEFE0120
	global_atomic_pk_add_bf16 v92, v76, s[8:9]                 // 000000009558: DD488000 00084C5C
	s_mov_b64 exec, s[36:37]                                   // 000000009560: BEFE0124
	s_mov_b64 exec, s[32:33]                                   // 000000009564: BEFE0120
	global_atomic_pk_add_bf16 v92, v77, s[8:9] offset:256      // 000000009568: DD488100 00084D5C
	s_mov_b64 exec, s[36:37]                                   // 000000009570: BEFE0124
	s_mov_b64 exec, s[34:35]                                   // 000000009574: BEFE0122
	global_atomic_pk_add_bf16 v94, v78, s[8:9]                 // 000000009578: DD488000 00084E5E
	s_mov_b64 exec, s[36:37]                                   // 000000009580: BEFE0124
	s_mov_b64 exec, s[34:35]                                   // 000000009584: BEFE0122
	global_atomic_pk_add_bf16 v94, v79, s[8:9] offset:256      // 000000009588: DD488100 00084F5E
	s_mov_b64 exec, s[36:37]                                   // 000000009590: BEFE0124
	s_add_u32 s8, s59, s8                                      // 000000009594: 8008083B
	s_addc_u32 s9, 0, s9                                       // 000000009598: 82090980
	s_addk_i32 s80, 0x100                                      // 00000000959C: B7500100
	s_cmp_lt_i32 s80, s81                                      // 0000000095A0: BF045150
	s_cbranch_scc0 label_0E16                                  // 0000000095A4: BF84F42C
	s_branch label_150C                                        // 0000000095A8: BF82FB21

00000000000095ac <label_19EB>:
	s_waitcnt vmcnt(0) expcnt(0) lgkmcnt(0)                    // 0000000095AC: BF8C0000
	s_endpgm                                                   // 0000000095B0: BF810000
